;; amdgpu-corpus repo=ROCm/rocFFT kind=compiled arch=gfx950 opt=O3
	.text
	.amdgcn_target "amdgcn-amd-amdhsa--gfx950"
	.amdhsa_code_object_version 6
	.protected	bluestein_single_fwd_len680_dim1_dp_op_CI_CI ; -- Begin function bluestein_single_fwd_len680_dim1_dp_op_CI_CI
	.globl	bluestein_single_fwd_len680_dim1_dp_op_CI_CI
	.p2align	8
	.type	bluestein_single_fwd_len680_dim1_dp_op_CI_CI,@function
bluestein_single_fwd_len680_dim1_dp_op_CI_CI: ; @bluestein_single_fwd_len680_dim1_dp_op_CI_CI
; %bb.0:
	s_load_dwordx4 s[8:11], s[0:1], 0x28
	v_mul_u32_u24_e32 v1, 0x3c4, v0
	v_lshrrev_b32_e32 v2, 16, v1
	v_mad_u64_u32 v[4:5], s[2:3], s2, 3, v[2:3]
	v_mov_b32_e32 v5, 0
	s_waitcnt lgkmcnt(0)
	v_cmp_gt_u64_e32 vcc, s[8:9], v[4:5]
	s_and_saveexec_b64 s[2:3], vcc
	s_cbranch_execz .LBB0_23
; %bb.1:
	v_mul_lo_u16_e32 v1, 0x44, v2
	s_mov_b32 s2, 0xaaaaaaab
	v_sub_u16_e32 v2, v0, v1
	v_mul_hi_u32 v0, v4, s2
	v_lshrrev_b32_e32 v0, 1, v0
	s_load_dwordx2 s[8:9], s[0:1], 0x0
	s_load_dwordx2 s[12:13], s[0:1], 0x38
	v_lshl_add_u32 v0, v0, 1, v0
	v_sub_u32_e32 v0, v4, v0
	v_mul_u32_u24_e32 v240, 0x2a8, v0
	v_lshlrev_b32_e32 v0, 4, v2
	v_accvgpr_write_b32 a2, v0
	v_lshlrev_b32_e32 v0, 4, v240
	v_accvgpr_write_b32 a4, v4
	v_cmp_gt_u16_e32 vcc, 40, v2
	v_accvgpr_write_b32 a0, v2
	v_accvgpr_write_b32 a1, v0
	s_and_saveexec_b64 s[14:15], vcc
	s_cbranch_execz .LBB0_3
; %bb.2:
	s_load_dwordx2 s[2:3], s[0:1], 0x18
	v_accvgpr_read_b32 v10, a4
	v_accvgpr_read_b32 v38, a0
	v_mov_b32_e32 v0, s10
	v_mov_b32_e32 v1, s11
	s_waitcnt lgkmcnt(0)
	s_load_dwordx4 s[4:7], s[2:3], 0x0
	v_accvgpr_read_b32 v40, a2
	v_mov_b32_e32 v41, 0
	v_lshl_add_u64 v[100:101], s[8:9], 0, v[40:41]
	v_mov_b32_e32 v36, 0x280
	s_waitcnt lgkmcnt(0)
	v_mad_u64_u32 v[2:3], s[2:3], s6, v10, 0
	v_mad_u64_u32 v[4:5], s[2:3], s4, v38, 0
	v_mov_b32_e32 v6, v3
	v_mov_b32_e32 v8, v5
	v_mad_u64_u32 v[6:7], s[2:3], s7, v10, v[6:7]
	v_mov_b32_e32 v3, v6
	v_mad_u64_u32 v[6:7], s[2:3], s5, v38, v[8:9]
	v_mov_b32_e32 v5, v6
	v_lshl_add_u64 v[32:33], v[2:3], 4, v[0:1]
	s_movk_i32 s2, 0x1000
	v_lshl_add_u64 v[34:35], v[4:5], 4, v[32:33]
	v_or_b32_e32 v55, 0x140, v38
	v_or_b32_e32 v145, 0x280, v38
	v_add_co_u32_e64 v118, s[2:3], s2, v100
	global_load_dwordx4 v[0:3], v40, s[8:9]
	global_load_dwordx4 v[4:7], v[34:35], off
	v_accvgpr_read_b32 v37, a1
	v_lshlrev_b32_e32 v54, 4, v145
	v_addc_co_u32_e64 v119, s[2:3], 0, v101, s[2:3]
	s_mul_i32 s6, s5, 0x280
	v_mad_u64_u32 v[62:63], s[2:3], s4, v55, 0
	v_mad_u64_u32 v[34:35], s[2:3], s4, v36, v[34:35]
	global_load_dwordx4 v[8:11], v40, s[8:9] offset:640
	global_load_dwordx4 v[12:15], v40, s[8:9] offset:1280
	;; [unrolled: 1-line block ×6, first 2 shown]
	v_lshl_add_u32 v144, v38, 4, v37
	v_add_u32_e32 v37, v37, v40
	v_lshlrev_b32_e32 v56, 4, v55
	global_load_dwordx4 v[38:41], v54, s[8:9]
	global_load_dwordx4 v[42:45], v56, s[8:9]
	global_load_dwordx4 v[46:49], v[118:119], off offset:384
	global_load_dwordx4 v[50:53], v[118:119], off offset:1664
	v_mov_b32_e32 v54, v63
	v_add_u32_e32 v35, s6, v35
	v_mad_u64_u32 v[58:59], s[2:3], s5, v55, v[54:55]
	global_load_dwordx4 v[54:57], v[34:35], off
	v_mad_u64_u32 v[34:35], s[2:3], s4, v36, v[34:35]
	v_add_u32_e32 v35, s6, v35
	v_mov_b32_e32 v63, v58
	global_load_dwordx4 v[58:61], v[34:35], off
	v_mad_u64_u32 v[34:35], s[2:3], s4, v36, v[34:35]
	v_add_u32_e32 v35, s6, v35
	v_lshl_add_u64 v[70:71], v[62:63], 4, v[32:33]
	global_load_dwordx4 v[62:65], v[34:35], off
	global_load_dwordx4 v[66:69], v[70:71], off
	v_mad_u64_u32 v[34:35], s[2:3], s4, v36, v[34:35]
	v_add_u32_e32 v35, s6, v35
	global_load_dwordx4 v[70:73], v[34:35], off
	v_mad_u64_u32 v[34:35], s[2:3], s4, v36, v[34:35]
	v_add_u32_e32 v35, s6, v35
	;; [unrolled: 3-line block ×4, first 2 shown]
	v_mov_b32_e32 v86, 0x500
	global_load_dwordx4 v[82:85], v[34:35], off
	s_mul_i32 s7, s5, 0x500
	v_mad_u64_u32 v[34:35], s[2:3], s4, v86, v[34:35]
	v_add_u32_e32 v35, s7, v35
	global_load_dwordx4 v[86:89], v[34:35], off
	v_mad_u64_u32 v[34:35], s[2:3], s4, v36, v[34:35]
	v_add_u32_e32 v35, s6, v35
	global_load_dwordx4 v[90:93], v[34:35], off
	;; [unrolled: 3-line block ×3, first 2 shown]
	v_mad_u64_u32 v[34:35], s[2:3], s4, v36, v[34:35]
	global_load_dwordx4 v[102:105], v[118:119], off offset:2304
	global_load_dwordx4 v[106:109], v[118:119], off offset:2944
	v_add_u32_e32 v35, s6, v35
	global_load_dwordx4 v[110:113], v[34:35], off
	global_load_dwordx4 v[114:117], v[118:119], off offset:3584
	v_mad_u64_u32 v[34:35], s[2:3], s4, v36, v[34:35]
	s_movk_i32 s2, 0x2000
	v_add_u32_e32 v35, s6, v35
	v_add_co_u32_e64 v100, s[2:3], s2, v100
	global_load_dwordx4 v[118:121], v[34:35], off
	s_nop 0
	v_addc_co_u32_e64 v101, s[2:3], 0, v101, s[2:3]
	v_mad_u64_u32 v[34:35], s[2:3], s4, v36, v[34:35]
	global_load_dwordx4 v[122:125], v[100:101], off offset:128
	global_load_dwordx4 v[130:133], v[100:101], off offset:768
	v_add_u32_e32 v35, s6, v35
	global_load_dwordx4 v[126:129], v[34:35], off
	v_mad_u64_u32 v[34:35], s[2:3], s4, v36, v[34:35]
	v_mad_u64_u32 v[142:143], s[2:3], s4, v145, 0
	v_add_u32_e32 v35, s6, v35
	v_mov_b32_e32 v36, v143
	global_load_dwordx4 v[134:137], v[34:35], off
	global_load_dwordx4 v[138:141], v[100:101], off offset:1408
	v_mad_u64_u32 v[34:35], s[2:3], s5, v145, v[36:37]
	v_mov_b32_e32 v143, v34
	v_lshl_add_u64 v[32:33], v[142:143], 4, v[32:33]
	global_load_dwordx4 v[32:35], v[32:33], off
	s_waitcnt vmcnt(32)
	v_mul_f64 v[98:99], v[6:7], v[2:3]
	v_mul_f64 v[2:3], v[4:5], v[2:3]
	v_fmac_f64_e32 v[98:99], v[4:5], v[0:1]
	v_fma_f64 v[100:101], v[6:7], v[0:1], -v[2:3]
	ds_write_b128 v144, v[98:101]
	s_waitcnt vmcnt(21)
	v_mul_f64 v[0:1], v[56:57], v[10:11]
	v_mul_f64 v[2:3], v[54:55], v[10:11]
	v_fmac_f64_e32 v[0:1], v[54:55], v[8:9]
	v_fma_f64 v[2:3], v[56:57], v[8:9], -v[2:3]
	ds_write_b128 v37, v[0:3] offset:640
	s_waitcnt vmcnt(20)
	v_mul_f64 v[0:1], v[60:61], v[14:15]
	v_mul_f64 v[2:3], v[58:59], v[14:15]
	v_fmac_f64_e32 v[0:1], v[58:59], v[12:13]
	v_fma_f64 v[2:3], v[60:61], v[12:13], -v[2:3]
	ds_write_b128 v37, v[0:3] offset:1280
	;; [unrolled: 6-line block ×6, first 2 shown]
	s_waitcnt vmcnt(14)
	v_mul_f64 v[0:1], v[82:83], v[48:49]
	v_fma_f64 v[2:3], v[84:85], v[46:47], -v[0:1]
	v_mul_f64 v[0:1], v[84:85], v[48:49]
	v_fmac_f64_e32 v[0:1], v[82:83], v[46:47]
	ds_write_b128 v37, v[0:3] offset:4480
	v_mul_f64 v[0:1], v[68:69], v[44:45]
	v_mul_f64 v[2:3], v[66:67], v[44:45]
	v_fmac_f64_e32 v[0:1], v[66:67], v[42:43]
	v_fma_f64 v[2:3], v[68:69], v[42:43], -v[2:3]
	ds_write_b128 v37, v[0:3] offset:5120
	s_waitcnt vmcnt(13)
	v_mul_f64 v[0:1], v[88:89], v[52:53]
	v_mul_f64 v[2:3], v[86:87], v[52:53]
	v_fmac_f64_e32 v[0:1], v[86:87], v[50:51]
	v_fma_f64 v[2:3], v[88:89], v[50:51], -v[2:3]
	ds_write_b128 v37, v[0:3] offset:5760
	s_waitcnt vmcnt(10)
	;; [unrolled: 6-line block ×8, first 2 shown]
	v_mul_f64 v[0:1], v[34:35], v[40:41]
	v_mul_f64 v[2:3], v[32:33], v[40:41]
	v_fmac_f64_e32 v[0:1], v[32:33], v[38:39]
	v_fma_f64 v[2:3], v[34:35], v[38:39], -v[2:3]
	ds_write_b128 v37, v[0:3] offset:10240
.LBB0_3:
	s_or_b64 exec, exec, s[14:15]
	s_waitcnt lgkmcnt(0)
	s_barrier
	s_waitcnt lgkmcnt(0)
                                        ; implicit-def: $vgpr20_vgpr21
                                        ; implicit-def: $vgpr24_vgpr25
                                        ; implicit-def: $vgpr32_vgpr33
                                        ; implicit-def: $vgpr40_vgpr41
                                        ; implicit-def: $vgpr52_vgpr53
                                        ; implicit-def: $vgpr60_vgpr61
                                        ; implicit-def: $vgpr68_vgpr69
                                        ; implicit-def: $vgpr72_vgpr73
                                        ; implicit-def: $vgpr76_vgpr77
                                        ; implicit-def: $vgpr80_vgpr81
                                        ; implicit-def: $vgpr84_vgpr85
                                        ; implicit-def: $vgpr64_vgpr65
                                        ; implicit-def: $vgpr56_vgpr57
                                        ; implicit-def: $vgpr48_vgpr49
                                        ; implicit-def: $vgpr44_vgpr45
                                        ; implicit-def: $vgpr36_vgpr37
                                        ; implicit-def: $vgpr28_vgpr29
	s_and_saveexec_b64 s[2:3], vcc
	s_cbranch_execz .LBB0_5
; %bb.4:
	v_accvgpr_read_b32 v0, a2
	v_lshl_add_u32 v0, v240, 4, v0
	ds_read_b128 v[20:23], v0
	ds_read_b128 v[28:31], v0 offset:640
	ds_read_b128 v[36:39], v0 offset:1280
	ds_read_b128 v[24:27], v0 offset:1920
	ds_read_b128 v[32:35], v0 offset:2560
	ds_read_b128 v[44:47], v0 offset:3200
	ds_read_b128 v[48:51], v0 offset:3840
	ds_read_b128 v[40:43], v0 offset:4480
	ds_read_b128 v[52:55], v0 offset:5120
	ds_read_b128 v[56:59], v0 offset:5760
	ds_read_b128 v[64:67], v0 offset:6400
	ds_read_b128 v[60:63], v0 offset:7040
	ds_read_b128 v[68:71], v0 offset:7680
	ds_read_b128 v[72:75], v0 offset:8320
	ds_read_b128 v[76:79], v0 offset:8960
	ds_read_b128 v[80:83], v0 offset:9600
	ds_read_b128 v[84:87], v0 offset:10240
.LBB0_5:
	s_or_b64 exec, exec, s[2:3]
	s_mov_b32 s38, 0x5d8e7cdc
	s_waitcnt lgkmcnt(0)
	v_add_f64 v[4:5], v[30:31], -v[86:87]
	s_mov_b32 s39, 0xbfd71e95
	s_mov_b32 s46, 0x2a9d6da3
	s_load_dwordx2 s[4:5], s[0:1], 0x20
	s_load_dwordx2 s[2:3], s[0:1], 0x8
	s_mov_b32 s0, 0x370991
	v_mul_f64 v[0:1], v[4:5], s[38:39]
	s_mov_b32 s47, 0xbfe58eea
	v_add_f64 v[106:107], v[38:39], -v[82:83]
	v_add_f64 v[130:131], v[84:85], v[28:29]
	v_add_f64 v[2:3], v[28:29], -v[84:85]
	s_mov_b32 s1, 0x3fedd6d0
	v_accvgpr_write_b32 a15, v1
	s_mov_b32 s18, 0x75d4884
	v_mul_f64 v[108:109], v[106:107], s[46:47]
	v_add_f64 v[132:133], v[86:87], v[30:31]
	v_mul_f64 v[8:9], v[2:3], s[38:39]
	v_accvgpr_write_b32 a14, v0
	v_fma_f64 v[0:1], s[0:1], v[130:131], v[0:1]
	s_mov_b32 s19, 0x3fe7a5f6
	v_add_f64 v[146:147], v[80:81], v[36:37]
	v_add_f64 v[104:105], v[36:37], -v[80:81]
	v_accvgpr_write_b32 a28, v108
	v_add_f64 v[6:7], v[20:21], v[0:1]
	v_accvgpr_write_b32 a17, v9
	v_fma_f64 v[0:1], v[132:133], s[0:1], -v[8:9]
	s_mov_b32 s40, 0xeb564b22
	v_add_f64 v[148:149], v[82:83], v[38:39]
	v_mul_f64 v[110:111], v[104:105], s[46:47]
	v_accvgpr_write_b32 a29, v109
	v_fma_f64 v[108:109], s[18:19], v[146:147], v[108:109]
	v_accvgpr_write_b32 a16, v8
	v_add_f64 v[0:1], v[22:23], v[0:1]
	v_mul_f64 v[8:9], v[4:5], s[46:47]
	s_mov_b32 s41, 0xbfefdd0d
	v_add_f64 v[6:7], v[108:109], v[6:7]
	v_fma_f64 v[108:109], v[148:149], s[18:19], -v[110:111]
	v_mul_f64 v[10:11], v[2:3], s[46:47]
	v_accvgpr_write_b32 a19, v9
	s_mov_b32 s14, 0x3259b75e
	v_add_f64 v[0:1], v[108:109], v[0:1]
	v_mul_f64 v[108:109], v[106:107], s[40:41]
	v_accvgpr_write_b32 a18, v8
	v_fma_f64 v[8:9], s[18:19], v[130:131], v[8:9]
	v_accvgpr_write_b32 a21, v11
	s_mov_b32 s34, 0x7c9e640b
	s_mov_b32 s15, 0x3fb79ee6
	v_accvgpr_write_b32 a30, v110
	v_accvgpr_write_b32 a34, v108
	v_add_f64 v[8:9], v[20:21], v[8:9]
	v_accvgpr_write_b32 a20, v10
	v_fma_f64 v[10:11], v[132:133], s[18:19], -v[10:11]
	s_mov_b32 s35, 0xbfeca52d
	s_mov_b32 s26, 0x6c9a05f6
	v_accvgpr_write_b32 a31, v111
	v_mul_f64 v[110:111], v[104:105], s[40:41]
	v_accvgpr_write_b32 a35, v109
	v_fma_f64 v[108:109], s[14:15], v[146:147], v[108:109]
	v_add_f64 v[10:11], v[22:23], v[10:11]
	s_mov_b32 s6, 0x2b2883cd
	v_mul_f64 v[12:13], v[4:5], s[34:35]
	s_mov_b32 s27, 0xbfe9895b
	v_add_f64 v[8:9], v[108:109], v[8:9]
	v_fma_f64 v[108:109], v[148:149], s[14:15], -v[110:111]
	s_mov_b32 s7, 0x3fdc86fa
	v_mul_f64 v[14:15], v[2:3], s[34:35]
	v_accvgpr_write_b32 a23, v13
	s_mov_b32 s16, 0x6ed5f1bb
	v_add_f64 v[10:11], v[108:109], v[10:11]
	v_mul_f64 v[108:109], v[106:107], s[26:27]
	v_accvgpr_write_b32 a22, v12
	v_fma_f64 v[12:13], s[6:7], v[130:131], v[12:13]
	v_accvgpr_write_b32 a25, v15
	s_mov_b32 s17, 0xbfe348c8
	v_accvgpr_write_b32 a38, v110
	v_accvgpr_write_b32 a46, v108
	v_add_f64 v[12:13], v[20:21], v[12:13]
	v_accvgpr_write_b32 a24, v14
	v_fma_f64 v[14:15], v[132:133], s[6:7], -v[14:15]
	s_mov_b32 s36, 0xacd6c6b4
	v_accvgpr_write_b32 a39, v111
	v_mul_f64 v[110:111], v[104:105], s[26:27]
	v_accvgpr_write_b32 a47, v109
	v_fma_f64 v[108:109], s[16:17], v[146:147], v[108:109]
	v_add_f64 v[14:15], v[22:23], v[14:15]
	v_mul_f64 v[16:17], v[4:5], s[40:41]
	s_mov_b32 s37, 0xbfc7851a
	v_add_f64 v[12:13], v[108:109], v[12:13]
	v_fma_f64 v[108:109], v[148:149], s[16:17], -v[110:111]
	v_mul_f64 v[18:19], v[2:3], s[40:41]
	v_accvgpr_write_b32 a27, v17
	s_mov_b32 s22, 0x7faef3
	v_add_f64 v[14:15], v[108:109], v[14:15]
	v_mul_f64 v[108:109], v[106:107], s[36:37]
	v_accvgpr_write_b32 a26, v16
	v_fma_f64 v[16:17], s[14:15], v[130:131], v[16:17]
	v_accvgpr_write_b32 a33, v19
	s_mov_b32 s24, 0x923c349f
	s_mov_b32 s23, 0xbfef7484
	v_accvgpr_write_b32 a52, v110
	v_accvgpr_write_b32 a60, v108
	v_add_f64 v[16:17], v[20:21], v[16:17]
	v_accvgpr_write_b32 a32, v18
	v_fma_f64 v[18:19], v[132:133], s[14:15], -v[18:19]
	s_mov_b32 s25, 0xbfeec746
	s_mov_b32 s30, 0x4363dd80
	v_accvgpr_write_b32 a53, v111
	v_mul_f64 v[110:111], v[104:105], s[36:37]
	v_accvgpr_write_b32 a61, v109
	v_fma_f64 v[108:109], s[22:23], v[146:147], v[108:109]
	v_add_f64 v[18:19], v[22:23], v[18:19]
	s_mov_b32 s10, 0xc61f0d01
	v_mul_f64 v[88:89], v[4:5], s[24:25]
	s_mov_b32 s31, 0xbfe0d888
	v_add_f64 v[16:17], v[108:109], v[16:17]
	v_fma_f64 v[108:109], v[148:149], s[22:23], -v[110:111]
	s_mov_b32 s51, 0x3fe0d888
	s_mov_b32 s50, s30
	;; [unrolled: 1-line block ×3, first 2 shown]
	v_mul_f64 v[90:91], v[2:3], s[24:25]
	v_accvgpr_write_b32 a36, v88
	s_mov_b32 s20, 0x910ea3b9
	v_add_f64 v[18:19], v[108:109], v[18:19]
	v_mul_f64 v[108:109], v[106:107], s[50:51]
	v_accvgpr_write_b32 a37, v89
	v_fma_f64 v[88:89], s[10:11], v[130:131], v[88:89]
	v_accvgpr_write_b32 a40, v90
	s_mov_b32 s21, 0xbfeb34fa
	v_accvgpr_write_b32 a64, v110
	v_accvgpr_write_b32 a66, v108
	v_add_f64 v[88:89], v[20:21], v[88:89]
	v_accvgpr_write_b32 a41, v91
	v_fma_f64 v[90:91], v[132:133], s[10:11], -v[90:91]
	v_accvgpr_write_b32 a65, v111
	v_mul_f64 v[110:111], v[104:105], s[50:51]
	v_accvgpr_write_b32 a67, v109
	v_fma_f64 v[108:109], s[20:21], v[146:147], v[108:109]
	v_add_f64 v[90:91], v[22:23], v[90:91]
	v_mul_f64 v[92:93], v[4:5], s[26:27]
	v_add_f64 v[88:89], v[108:109], v[88:89]
	v_fma_f64 v[108:109], v[148:149], s[20:21], -v[110:111]
	s_mov_b32 s49, 0x3feec746
	s_mov_b32 s48, s24
	v_mul_f64 v[94:95], v[2:3], s[26:27]
	v_accvgpr_write_b32 a42, v92
	v_add_f64 v[90:91], v[108:109], v[90:91]
	v_mul_f64 v[108:109], v[106:107], s[48:49]
	v_accvgpr_write_b32 a43, v93
	v_fma_f64 v[92:93], s[16:17], v[130:131], v[92:93]
	v_accvgpr_write_b32 a44, v94
	v_accvgpr_write_b32 a68, v110
	;; [unrolled: 1-line block ×3, first 2 shown]
	v_add_f64 v[92:93], v[20:21], v[92:93]
	v_accvgpr_write_b32 a45, v95
	v_fma_f64 v[94:95], v[132:133], s[16:17], -v[94:95]
	v_accvgpr_write_b32 a69, v111
	v_mul_f64 v[110:111], v[104:105], s[48:49]
	v_accvgpr_write_b32 a75, v109
	v_fma_f64 v[108:109], s[10:11], v[146:147], v[108:109]
	v_add_f64 v[94:95], v[22:23], v[94:95]
	v_mul_f64 v[96:97], v[4:5], s[30:31]
	v_add_f64 v[92:93], v[108:109], v[92:93]
	v_fma_f64 v[108:109], v[148:149], s[10:11], -v[110:111]
	s_mov_b32 s29, 0x3feca52d
	s_mov_b32 s28, s34
	v_mul_f64 v[98:99], v[2:3], s[30:31]
	v_accvgpr_write_b32 a50, v96
	v_add_f64 v[94:95], v[108:109], v[94:95]
	v_mul_f64 v[108:109], v[106:107], s[28:29]
	v_accvgpr_write_b32 a51, v97
	v_fma_f64 v[96:97], s[20:21], v[130:131], v[96:97]
	v_accvgpr_write_b32 a56, v98
	v_accvgpr_write_b32 a80, v110
	v_accvgpr_write_b32 a88, v108
	v_add_f64 v[96:97], v[20:21], v[96:97]
	v_accvgpr_write_b32 a57, v99
	v_fma_f64 v[98:99], v[132:133], s[20:21], -v[98:99]
	v_mul_f64 v[4:5], v[4:5], s[36:37]
	v_accvgpr_write_b32 a81, v111
	v_mul_f64 v[110:111], v[104:105], s[28:29]
	v_accvgpr_write_b32 a89, v109
	v_fma_f64 v[108:109], s[6:7], v[146:147], v[108:109]
	s_mov_b32 s45, 0x3fd71e95
	s_mov_b32 s44, s38
	v_add_f64 v[98:99], v[22:23], v[98:99]
	v_fma_f64 v[100:101], v[130:131], s[22:23], -v[4:5]
	v_mul_f64 v[2:3], v[2:3], s[36:37]
	v_fmac_f64_e32 v[4:5], s[22:23], v[130:131]
	v_add_f64 v[96:97], v[108:109], v[96:97]
	v_fma_f64 v[108:109], v[148:149], s[6:7], -v[110:111]
	v_mul_f64 v[106:107], v[106:107], s[44:45]
	v_add_f64 v[100:101], v[20:21], v[100:101]
	v_fma_f64 v[102:103], s[22:23], v[132:133], v[2:3]
	v_add_f64 v[4:5], v[20:21], v[4:5]
	v_add_f64 v[98:99], v[108:109], v[98:99]
	v_fma_f64 v[108:109], v[146:147], s[0:1], -v[106:107]
	v_mul_f64 v[104:105], v[104:105], s[44:45]
	v_fmac_f64_e32 v[106:107], s[0:1], v[146:147]
	v_add_f64 v[102:103], v[22:23], v[102:103]
	v_fma_f64 v[2:3], v[132:133], s[22:23], -v[2:3]
	v_add_f64 v[100:101], v[108:109], v[100:101]
	v_fma_f64 v[108:109], s[0:1], v[148:149], v[104:105]
	v_add_f64 v[4:5], v[106:107], v[4:5]
	v_add_f64 v[106:107], v[26:27], -v[78:79]
	v_add_f64 v[2:3], v[22:23], v[2:3]
	v_add_f64 v[102:103], v[108:109], v[102:103]
	v_fma_f64 v[104:105], v[148:149], s[0:1], -v[104:105]
	v_mul_f64 v[108:109], v[106:107], s[34:35]
	v_accvgpr_write_b32 a92, v110
	v_add_f64 v[2:3], v[104:105], v[2:3]
	v_add_f64 v[166:167], v[24:25], v[76:77]
	v_add_f64 v[104:105], v[24:25], -v[76:77]
	v_accvgpr_write_b32 a48, v108
	v_accvgpr_write_b32 a93, v111
	v_add_f64 v[168:169], v[26:27], v[78:79]
	v_mul_f64 v[110:111], v[104:105], s[34:35]
	v_accvgpr_write_b32 a49, v109
	v_fma_f64 v[108:109], s[6:7], v[166:167], v[108:109]
	v_add_f64 v[6:7], v[108:109], v[6:7]
	v_fma_f64 v[108:109], v[168:169], s[6:7], -v[110:111]
	v_add_f64 v[0:1], v[108:109], v[0:1]
	v_mul_f64 v[108:109], v[106:107], s[26:27]
	v_accvgpr_write_b32 a54, v110
	v_accvgpr_write_b32 a58, v108
	;; [unrolled: 1-line block ×3, first 2 shown]
	v_mul_f64 v[110:111], v[104:105], s[26:27]
	v_accvgpr_write_b32 a59, v109
	v_fma_f64 v[108:109], s[16:17], v[166:167], v[108:109]
	v_add_f64 v[8:9], v[108:109], v[8:9]
	v_fma_f64 v[108:109], v[168:169], s[16:17], -v[110:111]
	s_mov_b32 s43, 0x3fc7851a
	s_mov_b32 s42, s36
	v_add_f64 v[10:11], v[108:109], v[10:11]
	v_mul_f64 v[108:109], v[106:107], s[42:43]
	v_accvgpr_write_b32 a62, v110
	v_accvgpr_write_b32 a70, v108
	;; [unrolled: 1-line block ×3, first 2 shown]
	v_mul_f64 v[110:111], v[104:105], s[42:43]
	v_accvgpr_write_b32 a71, v109
	v_fma_f64 v[108:109], s[22:23], v[166:167], v[108:109]
	v_add_f64 v[12:13], v[108:109], v[12:13]
	v_fma_f64 v[108:109], v[168:169], s[22:23], -v[110:111]
	v_add_f64 v[14:15], v[108:109], v[14:15]
	v_mul_f64 v[108:109], v[106:107], s[48:49]
	v_accvgpr_write_b32 a78, v110
	v_accvgpr_write_b32 a84, v108
	;; [unrolled: 1-line block ×3, first 2 shown]
	v_mul_f64 v[110:111], v[104:105], s[48:49]
	v_accvgpr_write_b32 a85, v109
	v_fma_f64 v[108:109], s[10:11], v[166:167], v[108:109]
	v_add_f64 v[16:17], v[108:109], v[16:17]
	v_fma_f64 v[108:109], v[168:169], s[10:11], -v[110:111]
	s_mov_b32 s43, 0x3fe58eea
	s_mov_b32 s42, s46
	v_add_f64 v[18:19], v[108:109], v[18:19]
	v_mul_f64 v[108:109], v[106:107], s[42:43]
	v_accvgpr_write_b32 a90, v110
	v_accvgpr_write_b32 a94, v108
	v_accvgpr_write_b32 a91, v111
	v_mul_f64 v[110:111], v[104:105], s[42:43]
	v_accvgpr_write_b32 a95, v109
	v_fma_f64 v[108:109], s[18:19], v[166:167], v[108:109]
	v_add_f64 v[88:89], v[108:109], v[88:89]
	v_fma_f64 v[108:109], v[168:169], s[18:19], -v[110:111]
	v_add_f64 v[90:91], v[108:109], v[90:91]
	v_mul_f64 v[108:109], v[106:107], s[38:39]
	v_accvgpr_write_b32 a96, v110
	v_accvgpr_write_b32 a102, v108
	v_accvgpr_write_b32 a97, v111
	v_mul_f64 v[110:111], v[104:105], s[38:39]
	v_accvgpr_write_b32 a103, v109
	v_fma_f64 v[108:109], s[0:1], v[166:167], v[108:109]
	v_add_f64 v[92:93], v[108:109], v[92:93]
	v_fma_f64 v[108:109], v[168:169], s[0:1], -v[110:111]
	;; [unrolled: 10-line block ×3, first 2 shown]
	v_mul_f64 v[106:107], v[106:107], s[30:31]
	v_add_f64 v[98:99], v[108:109], v[98:99]
	v_fma_f64 v[108:109], v[166:167], s[20:21], -v[106:107]
	v_mul_f64 v[104:105], v[104:105], s[30:31]
	v_fmac_f64_e32 v[106:107], s[20:21], v[166:167]
	v_add_f64 v[100:101], v[108:109], v[100:101]
	v_fma_f64 v[108:109], s[20:21], v[168:169], v[104:105]
	v_add_f64 v[4:5], v[106:107], v[4:5]
	v_add_f64 v[106:107], v[34:35], -v[74:75]
	v_add_f64 v[102:103], v[108:109], v[102:103]
	v_fma_f64 v[104:105], v[168:169], s[20:21], -v[104:105]
	v_mul_f64 v[108:109], v[106:107], s[40:41]
	v_accvgpr_write_b32 a121, v111
	v_add_f64 v[2:3], v[104:105], v[2:3]
	v_add_f64 v[202:203], v[32:33], v[72:73]
	v_add_f64 v[104:105], v[32:33], -v[72:73]
	v_accvgpr_write_b32 a72, v108
	v_accvgpr_write_b32 a120, v110
	v_add_f64 v[204:205], v[34:35], v[74:75]
	v_mul_f64 v[110:111], v[104:105], s[40:41]
	v_accvgpr_write_b32 a73, v109
	v_fma_f64 v[108:109], s[14:15], v[202:203], v[108:109]
	v_add_f64 v[6:7], v[108:109], v[6:7]
	v_fma_f64 v[108:109], v[204:205], s[14:15], -v[110:111]
	v_add_f64 v[108:109], v[108:109], v[0:1]
	v_mul_f64 v[0:1], v[106:107], s[36:37]
	v_accvgpr_write_b32 a76, v110
	v_accvgpr_write_b32 a83, v1
	v_accvgpr_write_b32 a77, v111
	v_mul_f64 v[110:111], v[104:105], s[36:37]
	v_accvgpr_write_b32 a82, v0
	v_fma_f64 v[0:1], s[22:23], v[202:203], v[0:1]
	v_add_f64 v[8:9], v[0:1], v[8:9]
	v_fma_f64 v[0:1], v[204:205], s[22:23], -v[110:111]
	v_add_f64 v[10:11], v[0:1], v[10:11]
	v_mul_f64 v[0:1], v[106:107], s[48:49]
	v_accvgpr_write_b32 a86, v110
	v_accvgpr_write_b32 a99, v1
	v_accvgpr_write_b32 a87, v111
	;; [unrolled: 10-line block ×3, first 2 shown]
	v_mul_f64 v[110:111], v[104:105], s[44:45]
	v_accvgpr_write_b32 a112, v0
	v_fma_f64 v[0:1], s[0:1], v[202:203], v[0:1]
	v_add_f64 v[16:17], v[0:1], v[16:17]
	v_fma_f64 v[0:1], v[204:205], s[0:1], -v[110:111]
	v_accvgpr_write_b32 a119, v111
	v_add_f64 v[18:19], v[0:1], v[18:19]
	v_mul_f64 v[0:1], v[106:107], s[34:35]
	v_accvgpr_write_b32 a118, v110
	v_mul_f64 v[112:113], v[104:105], s[34:35]
	v_fma_f64 v[110:111], s[6:7], v[202:203], v[0:1]
	v_add_f64 v[88:89], v[110:111], v[88:89]
	v_fma_f64 v[110:111], v[204:205], s[6:7], -v[112:113]
	v_add_f64 v[90:91], v[110:111], v[90:91]
	v_mul_f64 v[110:111], v[106:107], s[30:31]
	v_accvgpr_write_b32 a123, v1
	v_accvgpr_write_b32 a129, v111
	;; [unrolled: 1-line block ×3, first 2 shown]
	v_mul_f64 v[0:1], v[104:105], s[30:31]
	v_accvgpr_write_b32 a128, v110
	v_fma_f64 v[110:111], s[20:21], v[202:203], v[110:111]
	s_mov_b32 s53, 0x3fe9895b
	s_mov_b32 s52, s26
	v_add_f64 v[92:93], v[110:111], v[92:93]
	v_fma_f64 v[110:111], v[204:205], s[20:21], -v[0:1]
	v_mul_f64 v[120:121], v[106:107], s[52:53]
	v_add_f64 v[94:95], v[110:111], v[94:95]
	v_mul_f64 v[126:127], v[104:105], s[52:53]
	v_fma_f64 v[110:111], s[16:17], v[202:203], v[120:121]
	v_add_f64 v[96:97], v[110:111], v[96:97]
	v_fma_f64 v[110:111], v[204:205], s[16:17], -v[126:127]
	v_mul_f64 v[106:107], v[106:107], s[42:43]
	v_add_f64 v[98:99], v[110:111], v[98:99]
	v_fma_f64 v[110:111], v[202:203], s[18:19], -v[106:107]
	v_mul_f64 v[104:105], v[104:105], s[42:43]
	v_fmac_f64_e32 v[106:107], s[18:19], v[202:203]
	v_add_f64 v[100:101], v[110:111], v[100:101]
	v_fma_f64 v[110:111], s[18:19], v[204:205], v[104:105]
	v_add_f64 v[4:5], v[106:107], v[4:5]
	v_add_f64 v[106:107], v[46:47], -v[70:71]
	v_add_f64 v[102:103], v[110:111], v[102:103]
	v_fma_f64 v[104:105], v[204:205], s[18:19], -v[104:105]
	v_mul_f64 v[110:111], v[106:107], s[24:25]
	v_accvgpr_write_b32 a125, v113
	v_add_f64 v[2:3], v[104:105], v[2:3]
	v_add_f64 v[234:235], v[68:69], v[44:45]
	v_add_f64 v[104:105], v[44:45], -v[68:69]
	v_accvgpr_write_b32 a100, v110
	v_accvgpr_write_b32 a124, v112
	v_add_f64 v[236:237], v[70:71], v[46:47]
	v_mul_f64 v[112:113], v[104:105], s[24:25]
	v_accvgpr_write_b32 a101, v111
	v_fma_f64 v[110:111], s[10:11], v[234:235], v[110:111]
	v_add_f64 v[6:7], v[110:111], v[6:7]
	v_fma_f64 v[110:111], v[236:237], s[10:11], -v[112:113]
	v_add_f64 v[110:111], v[110:111], v[108:109]
	v_mul_f64 v[108:109], v[106:107], s[50:51]
	v_accvgpr_write_b32 a104, v112
	v_accvgpr_write_b32 a111, v109
	;; [unrolled: 1-line block ×3, first 2 shown]
	v_mul_f64 v[112:113], v[104:105], s[50:51]
	v_accvgpr_write_b32 a110, v108
	v_fma_f64 v[108:109], s[20:21], v[234:235], v[108:109]
	v_add_f64 v[8:9], v[108:109], v[8:9]
	v_fma_f64 v[108:109], v[236:237], s[20:21], -v[112:113]
	v_add_f64 v[10:11], v[108:109], v[10:11]
	v_mul_f64 v[108:109], v[106:107], s[42:43]
	v_accvgpr_write_b32 a127, v109
	v_mul_f64 v[252:253], v[104:105], s[42:43]
	v_accvgpr_write_b32 a126, v108
	v_fma_f64 v[108:109], s[18:19], v[234:235], v[108:109]
	v_add_f64 v[12:13], v[108:109], v[12:13]
	v_fma_f64 v[108:109], v[236:237], s[18:19], -v[252:253]
	v_mul_f64 v[122:123], v[106:107], s[34:35]
	v_add_f64 v[14:15], v[108:109], v[14:15]
	v_mul_f64 v[128:129], v[104:105], s[34:35]
	v_fma_f64 v[108:109], s[6:7], v[234:235], v[122:123]
	v_add_f64 v[16:17], v[108:109], v[16:17]
	v_fma_f64 v[108:109], v[236:237], s[6:7], -v[128:129]
	v_mul_f64 v[116:117], v[106:107], s[36:37]
	v_add_f64 v[18:19], v[108:109], v[18:19]
	v_mul_f64 v[138:139], v[104:105], s[36:37]
	v_fma_f64 v[108:109], s[22:23], v[234:235], v[116:117]
	s_mov_b32 s35, 0x3fefdd0d
	s_mov_b32 s34, s40
	v_accvgpr_write_b32 a117, v113
	v_add_f64 v[88:89], v[108:109], v[88:89]
	v_fma_f64 v[108:109], v[236:237], s[22:23], -v[138:139]
	v_mul_f64 v[118:119], v[106:107], s[34:35]
	v_accvgpr_write_b32 a116, v112
	v_add_f64 v[90:91], v[108:109], v[90:91]
	v_mul_f64 v[112:113], v[104:105], s[34:35]
	v_fma_f64 v[108:109], s[14:15], v[234:235], v[118:119]
	v_add_f64 v[92:93], v[108:109], v[92:93]
	v_fma_f64 v[108:109], v[236:237], s[14:15], -v[112:113]
	v_mul_f64 v[114:115], v[106:107], s[38:39]
	v_add_f64 v[94:95], v[108:109], v[94:95]
	v_mul_f64 v[108:109], v[104:105], s[38:39]
	v_fma_f64 v[124:125], s[0:1], v[234:235], v[114:115]
	v_add_f64 v[96:97], v[124:125], v[96:97]
	v_fma_f64 v[124:125], v[236:237], s[0:1], -v[108:109]
	v_mul_f64 v[106:107], v[106:107], s[26:27]
	v_add_f64 v[98:99], v[124:125], v[98:99]
	v_fma_f64 v[124:125], v[234:235], s[16:17], -v[106:107]
	v_mul_f64 v[104:105], v[104:105], s[26:27]
	v_add_f64 v[100:101], v[124:125], v[100:101]
	v_fma_f64 v[124:125], s[16:17], v[236:237], v[104:105]
	v_fma_f64 v[104:105], v[236:237], s[16:17], -v[104:105]
	v_add_f64 v[144:145], v[50:51], -v[62:63]
	v_add_f64 v[2:3], v[104:105], v[2:3]
	v_mul_f64 v[104:105], v[144:145], s[26:27]
	v_add_f64 v[134:135], v[60:61], v[48:49]
	v_add_f64 v[142:143], v[48:49], -v[60:61]
	v_accvgpr_write_b32 a131, v105
	v_add_f64 v[136:137], v[62:63], v[50:51]
	v_mul_f64 v[250:251], v[142:143], s[26:27]
	v_accvgpr_write_b32 a130, v104
	v_fma_f64 v[104:105], s[16:17], v[134:135], v[104:105]
	v_add_f64 v[6:7], v[104:105], v[6:7]
	v_fma_f64 v[104:105], v[136:137], s[16:17], -v[250:251]
	v_mul_f64 v[254:255], v[144:145], s[48:49]
	v_add_f64 v[102:103], v[124:125], v[102:103]
	v_add_f64 v[152:153], v[104:105], v[110:111]
	v_mul_f64 v[124:125], v[142:143], s[48:49]
	v_fma_f64 v[104:105], s[10:11], v[134:135], v[254:255]
	v_add_f64 v[8:9], v[104:105], v[8:9]
	v_fma_f64 v[104:105], v[136:137], s[10:11], -v[124:125]
	v_mul_f64 v[140:141], v[144:145], s[38:39]
	v_add_f64 v[10:11], v[104:105], v[10:11]
	v_mul_f64 v[150:151], v[142:143], s[38:39]
	v_fma_f64 v[104:105], s[0:1], v[134:135], v[140:141]
	v_add_f64 v[12:13], v[104:105], v[12:13]
	v_fma_f64 v[104:105], v[136:137], s[0:1], -v[150:151]
	v_mul_f64 v[154:155], v[144:145], s[30:31]
	;; [unrolled: 6-line block ×4, first 2 shown]
	v_add_f64 v[90:91], v[104:105], v[90:91]
	v_mul_f64 v[178:179], v[142:143], s[46:47]
	v_fma_f64 v[104:105], s[18:19], v[134:135], v[110:111]
	v_add_f64 v[92:93], v[104:105], v[92:93]
	v_fma_f64 v[104:105], v[136:137], s[18:19], -v[178:179]
	v_fmac_f64_e32 v[106:107], s[16:17], v[234:235]
	v_add_f64 v[94:95], v[104:105], v[94:95]
	v_mul_f64 v[104:105], v[144:145], s[36:37]
	v_add_f64 v[4:5], v[106:107], v[4:5]
	v_mul_f64 v[106:107], v[142:143], s[36:37]
	v_fma_f64 v[156:157], s[22:23], v[134:135], v[104:105]
	v_add_f64 v[96:97], v[156:157], v[96:97]
	v_fma_f64 v[156:157], v[136:137], s[22:23], -v[106:107]
	v_mul_f64 v[144:145], v[144:145], s[28:29]
	v_add_f64 v[98:99], v[156:157], v[98:99]
	v_fma_f64 v[156:157], v[134:135], s[6:7], -v[144:145]
	v_mul_f64 v[142:143], v[142:143], s[28:29]
	v_add_f64 v[100:101], v[156:157], v[100:101]
	v_fma_f64 v[156:157], s[6:7], v[136:137], v[142:143]
	v_fma_f64 v[142:143], v[136:137], s[6:7], -v[142:143]
	v_add_f64 v[176:177], v[42:43], -v[66:67]
	v_fmac_f64_e32 v[144:145], s[6:7], v[134:135]
	v_add_f64 v[2:3], v[142:143], v[2:3]
	v_add_f64 v[158:159], v[40:41], v[64:65]
	v_add_f64 v[174:175], v[40:41], -v[64:65]
	v_mul_f64 v[142:143], v[176:177], s[30:31]
	v_add_f64 v[102:103], v[156:157], v[102:103]
	v_add_f64 v[4:5], v[144:145], v[4:5]
	v_add_f64 v[160:161], v[42:43], v[66:67]
	v_mul_f64 v[144:145], v[174:175], s[30:31]
	v_fma_f64 v[156:157], s[20:21], v[158:159], v[142:143]
	v_add_f64 v[6:7], v[156:157], v[6:7]
	v_fma_f64 v[156:157], v[160:161], s[20:21], -v[144:145]
	v_add_f64 v[188:189], v[156:157], v[152:153]
	v_mul_f64 v[152:153], v[176:177], s[28:29]
	v_mul_f64 v[156:157], v[174:175], s[28:29]
	v_fma_f64 v[172:173], s[6:7], v[158:159], v[152:153]
	v_add_f64 v[192:193], v[172:173], v[8:9]
	v_fma_f64 v[8:9], v[160:161], s[6:7], -v[156:157]
	v_mul_f64 v[172:173], v[176:177], s[40:41]
	v_add_f64 v[194:195], v[8:9], v[10:11]
	v_mul_f64 v[180:181], v[174:175], s[40:41]
	v_fma_f64 v[8:9], s[14:15], v[158:159], v[172:173]
	v_mul_f64 v[186:187], v[176:177], s[52:53]
	v_add_f64 v[8:9], v[8:9], v[12:13]
	v_fma_f64 v[10:11], v[160:161], s[14:15], -v[180:181]
	v_mul_f64 v[190:191], v[174:175], s[52:53]
	v_fma_f64 v[12:13], s[16:17], v[158:159], v[186:187]
	v_mul_f64 v[198:199], v[176:177], s[38:39]
	v_add_f64 v[10:11], v[10:11], v[14:15]
	v_add_f64 v[12:13], v[12:13], v[16:17]
	v_fma_f64 v[14:15], v[160:161], s[16:17], -v[190:191]
	v_mul_f64 v[206:207], v[174:175], s[38:39]
	v_fma_f64 v[16:17], s[0:1], v[158:159], v[198:199]
	v_mul_f64 v[208:209], v[176:177], s[36:37]
	v_add_f64 v[14:15], v[14:15], v[18:19]
	;; [unrolled: 6-line block ×4, first 2 shown]
	v_add_f64 v[92:93], v[92:93], v[96:97]
	v_fma_f64 v[94:95], v[160:161], s[18:19], -v[216:217]
	v_fma_f64 v[96:97], v[158:159], s[10:11], -v[176:177]
	v_mul_f64 v[174:175], v[174:175], s[24:25]
	v_fmac_f64_e32 v[176:177], s[10:11], v[158:159]
	v_add_f64 v[226:227], v[54:55], -v[58:59]
	v_add_f64 v[94:95], v[94:95], v[98:99]
	v_add_f64 v[96:97], v[96:97], v[100:101]
	v_fma_f64 v[98:99], s[10:11], v[160:161], v[174:175]
	v_add_f64 v[100:101], v[176:177], v[4:5]
	v_fma_f64 v[4:5], v[160:161], s[10:11], -v[174:175]
	v_add_f64 v[182:183], v[52:53], v[56:57]
	v_add_f64 v[224:225], v[52:53], -v[56:57]
	v_mul_f64 v[174:175], v[226:227], s[36:37]
	v_add_f64 v[98:99], v[98:99], v[102:103]
	v_add_f64 v[102:103], v[4:5], v[2:3]
	;; [unrolled: 1-line block ×3, first 2 shown]
	v_mul_f64 v[176:177], v[224:225], s[36:37]
	v_fma_f64 v[2:3], s[22:23], v[182:183], v[174:175]
	v_add_f64 v[246:247], v[2:3], v[6:7]
	v_fma_f64 v[2:3], v[184:185], s[22:23], -v[176:177]
	v_add_f64 v[248:249], v[2:3], v[188:189]
	v_mul_f64 v[188:189], v[226:227], s[44:45]
	v_mul_f64 v[200:201], v[224:225], s[44:45]
	v_fma_f64 v[2:3], s[0:1], v[182:183], v[188:189]
	v_add_f64 v[242:243], v[2:3], v[192:193]
	v_fma_f64 v[2:3], v[184:185], s[0:1], -v[200:201]
	v_mul_f64 v[214:215], v[226:227], s[30:31]
	v_add_f64 v[244:245], v[2:3], v[194:195]
	v_mul_f64 v[218:219], v[224:225], s[30:31]
	v_fma_f64 v[2:3], s[20:21], v[182:183], v[214:215]
	v_add_f64 v[6:7], v[2:3], v[8:9]
	v_fma_f64 v[2:3], v[184:185], s[20:21], -v[218:219]
	v_mul_f64 v[220:221], v[226:227], s[42:43]
	v_add_f64 v[8:9], v[2:3], v[10:11]
	;; [unrolled: 6-line block ×3, first 2 shown]
	v_accvgpr_write_b32 a6, v10
	v_mul_f64 v[230:231], v[224:225], s[26:27]
	v_fma_f64 v[2:3], s[16:17], v[182:183], v[228:229]
	v_accvgpr_write_b32 a7, v11
	v_accvgpr_write_b32 a8, v12
	;; [unrolled: 1-line block ×3, first 2 shown]
	v_add_f64 v[10:11], v[2:3], v[16:17]
	v_fma_f64 v[2:3], v[184:185], s[16:17], -v[230:231]
	v_mul_f64 v[192:193], v[226:227], s[28:29]
	v_add_f64 v[12:13], v[2:3], v[18:19]
	v_mul_f64 v[196:197], v[224:225], s[28:29]
	v_fma_f64 v[2:3], s[6:7], v[182:183], v[192:193]
	v_add_f64 v[88:89], v[2:3], v[88:89]
	v_fma_f64 v[2:3], v[184:185], s[6:7], -v[196:197]
	v_mul_f64 v[232:233], v[226:227], s[24:25]
	v_add_f64 v[90:91], v[2:3], v[90:91]
	v_mul_f64 v[238:239], v[224:225], s[24:25]
	v_fma_f64 v[2:3], s[10:11], v[182:183], v[232:233]
	v_add_f64 v[92:93], v[2:3], v[92:93]
	v_fma_f64 v[2:3], v[184:185], s[10:11], -v[238:239]
	v_add_f64 v[94:95], v[2:3], v[94:95]
	v_mul_f64 v[2:3], v[226:227], s[34:35]
	v_fma_f64 v[4:5], v[182:183], s[14:15], -v[2:3]
	v_add_f64 v[96:97], v[4:5], v[96:97]
	v_mul_f64 v[4:5], v[224:225], s[34:35]
	v_fmac_f64_e32 v[2:3], s[14:15], v[182:183]
	v_mov_b64_e32 v[224:225], v[246:247]
	v_add_f64 v[100:101], v[2:3], v[100:101]
	v_fma_f64 v[2:3], v[184:185], s[14:15], -v[4:5]
	v_mov_b64_e32 v[226:227], v[248:249]
	v_mov_b64_e32 v[248:249], v[8:9]
	v_add_f64 v[102:103], v[2:3], v[102:103]
	v_accvgpr_read_b32 v2, a0
	v_accvgpr_write_b32 a10, v10
	v_mov_b64_e32 v[246:247], v[6:7]
	v_fma_f64 v[6:7], s[14:15], v[184:185], v[4:5]
	v_mul_lo_u16_e32 v2, 17, v2
	v_accvgpr_write_b32 a11, v11
	v_accvgpr_write_b32 a12, v12
	;; [unrolled: 1-line block ×3, first 2 shown]
	v_add_f64 v[98:99], v[6:7], v[98:99]
	v_accvgpr_write_b32 a3, v2
	s_waitcnt lgkmcnt(0)
	s_barrier
	s_and_saveexec_b64 s[24:25], vcc
	s_cbranch_execz .LBB0_7
; %bb.6:
	v_accvgpr_read_b32 v14, a120
	v_mul_f64 v[12:13], v[168:169], s[14:15]
	v_accvgpr_read_b32 v15, a121
	v_accvgpr_read_b32 v16, a92
	v_add_f64 v[12:13], v[14:15], v[12:13]
	v_mul_f64 v[14:15], v[148:149], s[6:7]
	v_accvgpr_read_b32 v17, a93
	v_accvgpr_read_b32 v18, a56
	v_add_f64 v[14:15], v[16:17], v[14:15]
	v_mul_f64 v[16:17], v[132:133], s[20:21]
	v_accvgpr_read_b32 v19, a57
	v_add_f64 v[16:17], v[18:19], v[16:17]
	v_add_f64 v[16:17], v[22:23], v[16:17]
	v_mul_f64 v[10:11], v[204:205], s[16:17]
	v_add_f64 v[14:15], v[14:15], v[16:17]
	v_mul_f64 v[8:9], v[236:237], s[0:1]
	v_add_f64 v[10:11], v[126:127], v[10:11]
	v_add_f64 v[12:13], v[12:13], v[14:15]
	v_accvgpr_read_b32 v18, a114
	v_add_f64 v[8:9], v[108:109], v[8:9]
	v_add_f64 v[10:11], v[10:11], v[12:13]
	v_mul_f64 v[16:17], v[166:167], s[14:15]
	v_accvgpr_read_b32 v19, a115
	v_add_f64 v[8:9], v[8:9], v[10:11]
	v_mul_f64 v[10:11], v[134:135], s[22:23]
	v_add_f64 v[16:17], v[16:17], -v[18:19]
	v_accvgpr_read_b32 v18, a88
	v_add_f64 v[10:11], v[10:11], -v[104:105]
	v_mul_f64 v[104:105], v[146:147], s[6:7]
	v_accvgpr_read_b32 v19, a89
	v_mul_f64 v[6:7], v[136:137], s[22:23]
	v_add_f64 v[104:105], v[104:105], -v[18:19]
	v_accvgpr_read_b32 v18, a50
	v_add_f64 v[6:7], v[106:107], v[6:7]
	v_mul_f64 v[106:107], v[130:131], s[20:21]
	v_accvgpr_read_b32 v19, a51
	v_add_f64 v[106:107], v[106:107], -v[18:19]
	v_add_f64 v[106:107], v[20:21], v[106:107]
	v_mul_f64 v[14:15], v[202:203], s[16:17]
	v_add_f64 v[104:105], v[104:105], v[106:107]
	v_mul_f64 v[12:13], v[234:235], s[0:1]
	v_add_f64 v[14:15], v[14:15], -v[120:121]
	v_add_f64 v[16:17], v[16:17], v[104:105]
	v_add_f64 v[12:13], v[12:13], -v[114:115]
	v_add_f64 v[14:15], v[14:15], v[16:17]
	v_add_f64 v[6:7], v[6:7], v[8:9]
	v_mul_f64 v[8:9], v[158:159], s[18:19]
	v_add_f64 v[12:13], v[12:13], v[14:15]
	v_add_f64 v[8:9], v[8:9], -v[212:213]
	v_add_f64 v[10:11], v[10:11], v[12:13]
	v_add_f64 v[8:9], v[8:9], v[10:11]
	v_mul_f64 v[10:11], v[204:205], s[20:21]
	v_add_f64 v[10:11], v[0:1], v[10:11]
	v_accvgpr_read_b32 v0, a108
	v_mul_f64 v[12:13], v[168:169], s[0:1]
	v_accvgpr_read_b32 v1, a109
	v_add_f64 v[12:13], v[0:1], v[12:13]
	v_accvgpr_read_b32 v0, a80
	v_mul_f64 v[14:15], v[148:149], s[10:11]
	v_accvgpr_read_b32 v1, a81
	;; [unrolled: 4-line block ×3, first 2 shown]
	v_add_f64 v[16:17], v[0:1], v[16:17]
	v_add_f64 v[16:17], v[22:23], v[16:17]
	v_mul_f64 v[4:5], v[160:161], s[18:19]
	v_add_f64 v[14:15], v[14:15], v[16:17]
	v_accvgpr_read_b32 v0, a128
	v_add_f64 v[4:5], v[216:217], v[4:5]
	v_add_f64 v[12:13], v[12:13], v[14:15]
	v_mul_f64 v[14:15], v[202:203], s[20:21]
	v_accvgpr_read_b32 v1, a129
	v_add_f64 v[4:5], v[4:5], v[6:7]
	v_mul_f64 v[6:7], v[182:183], s[10:11]
	v_add_f64 v[14:15], v[14:15], -v[0:1]
	v_accvgpr_read_b32 v0, a102
	v_add_f64 v[6:7], v[6:7], -v[232:233]
	v_mul_f64 v[16:17], v[166:167], s[0:1]
	v_accvgpr_read_b32 v1, a103
	v_add_f64 v[104:105], v[6:7], v[8:9]
	v_mul_f64 v[8:9], v[236:237], s[14:15]
	v_add_f64 v[16:17], v[16:17], -v[0:1]
	v_accvgpr_read_b32 v0, a74
	v_add_f64 v[8:9], v[112:113], v[8:9]
	v_add_f64 v[10:11], v[10:11], v[12:13]
	v_mul_f64 v[108:109], v[146:147], s[10:11]
	v_accvgpr_read_b32 v1, a75
	v_add_f64 v[8:9], v[8:9], v[10:11]
	v_mul_f64 v[10:11], v[134:135], s[18:19]
	v_add_f64 v[108:109], v[108:109], -v[0:1]
	v_accvgpr_read_b32 v0, a42
	v_add_f64 v[10:11], v[10:11], -v[110:111]
	v_mul_f64 v[110:111], v[130:131], s[16:17]
	v_accvgpr_read_b32 v1, a43
	v_add_f64 v[110:111], v[110:111], -v[0:1]
	v_add_f64 v[110:111], v[20:21], v[110:111]
	v_add_f64 v[108:109], v[108:109], v[110:111]
	v_mul_f64 v[6:7], v[136:137], s[18:19]
	v_mul_f64 v[12:13], v[234:235], s[14:15]
	v_add_f64 v[16:17], v[16:17], v[108:109]
	v_add_f64 v[6:7], v[178:179], v[6:7]
	v_add_f64 v[12:13], v[12:13], -v[118:119]
	v_add_f64 v[14:15], v[14:15], v[16:17]
	v_add_f64 v[6:7], v[6:7], v[8:9]
	v_mul_f64 v[8:9], v[158:159], s[22:23]
	v_add_f64 v[12:13], v[12:13], v[14:15]
	v_add_f64 v[8:9], v[8:9], -v[208:209]
	v_add_f64 v[10:11], v[10:11], v[12:13]
	v_accvgpr_read_b32 v0, a124
	v_add_f64 v[8:9], v[8:9], v[10:11]
	v_mul_f64 v[10:11], v[204:205], s[6:7]
	v_accvgpr_read_b32 v1, a125
	v_accvgpr_read_b32 v12, a96
	v_add_f64 v[0:1], v[0:1], v[10:11]
	v_mul_f64 v[10:11], v[168:169], s[18:19]
	v_accvgpr_read_b32 v13, a97
	;; [unrolled: 4-line block ×4, first 2 shown]
	v_add_f64 v[14:15], v[16:17], v[14:15]
	v_add_f64 v[14:15], v[22:23], v[14:15]
	;; [unrolled: 1-line block ×3, first 2 shown]
	v_accvgpr_read_b32 v14, a122
	v_add_f64 v[10:11], v[10:11], v[12:13]
	v_mul_f64 v[12:13], v[202:203], s[6:7]
	v_accvgpr_read_b32 v15, a123
	v_accvgpr_read_b32 v16, a94
	v_mul_f64 v[2:3], v[184:185], s[10:11]
	v_add_f64 v[12:13], v[12:13], -v[14:15]
	v_mul_f64 v[14:15], v[166:167], s[18:19]
	v_accvgpr_read_b32 v17, a95
	v_accvgpr_read_b32 v18, a66
	v_add_f64 v[2:3], v[238:239], v[2:3]
	v_add_f64 v[14:15], v[14:15], -v[16:17]
	v_mul_f64 v[16:17], v[146:147], s[20:21]
	v_accvgpr_read_b32 v19, a67
	v_add_f64 v[106:107], v[2:3], v[4:5]
	v_mul_f64 v[4:5], v[160:161], s[22:23]
	v_add_f64 v[16:17], v[16:17], -v[18:19]
	v_accvgpr_read_b32 v18, a36
	v_add_f64 v[4:5], v[210:211], v[4:5]
	v_mul_f64 v[112:113], v[130:131], s[10:11]
	v_accvgpr_read_b32 v19, a37
	v_add_f64 v[4:5], v[4:5], v[6:7]
	v_mul_f64 v[6:7], v[182:183], s[6:7]
	v_add_f64 v[112:113], v[112:113], -v[18:19]
	v_add_f64 v[6:7], v[6:7], -v[192:193]
	v_add_f64 v[112:113], v[20:21], v[112:113]
	v_add_f64 v[108:109], v[6:7], v[8:9]
	v_mul_f64 v[8:9], v[236:237], s[22:23]
	v_add_f64 v[16:17], v[16:17], v[112:113]
	v_mul_f64 v[6:7], v[136:137], s[14:15]
	v_add_f64 v[8:9], v[138:139], v[8:9]
	v_add_f64 v[0:1], v[0:1], v[10:11]
	v_mul_f64 v[10:11], v[234:235], s[22:23]
	v_add_f64 v[14:15], v[14:15], v[16:17]
	v_add_f64 v[6:7], v[170:171], v[6:7]
	;; [unrolled: 1-line block ×3, first 2 shown]
	v_mul_f64 v[8:9], v[134:135], s[14:15]
	v_add_f64 v[10:11], v[10:11], -v[116:117]
	v_add_f64 v[12:13], v[12:13], v[14:15]
	v_add_f64 v[0:1], v[6:7], v[0:1]
	v_mul_f64 v[6:7], v[158:159], s[0:1]
	v_add_f64 v[8:9], v[8:9], -v[164:165]
	v_add_f64 v[10:11], v[10:11], v[12:13]
	v_add_f64 v[6:7], v[6:7], -v[198:199]
	v_add_f64 v[8:9], v[8:9], v[10:11]
	v_accvgpr_read_b32 v10, a118
	v_add_f64 v[6:7], v[6:7], v[8:9]
	v_mul_f64 v[8:9], v[204:205], s[0:1]
	v_accvgpr_read_b32 v11, a119
	v_accvgpr_read_b32 v12, a90
	v_add_f64 v[8:9], v[10:11], v[8:9]
	v_mul_f64 v[10:11], v[168:169], s[10:11]
	v_accvgpr_read_b32 v13, a91
	v_accvgpr_read_b32 v14, a64
	v_add_f64 v[10:11], v[12:13], v[10:11]
	v_mul_f64 v[12:13], v[148:149], s[22:23]
	v_accvgpr_read_b32 v15, a65
	v_accvgpr_read_b32 v16, a32
	v_add_f64 v[12:13], v[14:15], v[12:13]
	v_mul_f64 v[14:15], v[132:133], s[14:15]
	v_accvgpr_read_b32 v17, a33
	v_add_f64 v[14:15], v[16:17], v[14:15]
	v_add_f64 v[14:15], v[22:23], v[14:15]
	;; [unrolled: 1-line block ×3, first 2 shown]
	v_accvgpr_read_b32 v14, a112
	v_add_f64 v[10:11], v[10:11], v[12:13]
	v_mul_f64 v[12:13], v[202:203], s[0:1]
	v_accvgpr_read_b32 v15, a113
	v_accvgpr_read_b32 v16, a84
	v_mul_f64 v[2:3], v[184:185], s[6:7]
	v_add_f64 v[12:13], v[12:13], -v[14:15]
	v_mul_f64 v[14:15], v[166:167], s[10:11]
	v_accvgpr_read_b32 v17, a85
	v_accvgpr_read_b32 v18, a60
	v_add_f64 v[2:3], v[196:197], v[2:3]
	v_add_f64 v[14:15], v[14:15], -v[16:17]
	v_mul_f64 v[16:17], v[146:147], s[22:23]
	v_accvgpr_read_b32 v19, a61
	v_add_f64 v[110:111], v[2:3], v[4:5]
	v_mul_f64 v[4:5], v[160:161], s[0:1]
	v_add_f64 v[16:17], v[16:17], -v[18:19]
	v_accvgpr_read_b32 v18, a26
	v_add_f64 v[4:5], v[206:207], v[4:5]
	v_mul_f64 v[116:117], v[130:131], s[14:15]
	v_accvgpr_read_b32 v19, a27
	v_add_f64 v[0:1], v[4:5], v[0:1]
	v_mul_f64 v[4:5], v[182:183], s[16:17]
	v_add_f64 v[116:117], v[116:117], -v[18:19]
	v_add_f64 v[4:5], v[4:5], -v[228:229]
	v_add_f64 v[116:117], v[20:21], v[116:117]
	v_add_f64 v[112:113], v[4:5], v[6:7]
	v_mul_f64 v[6:7], v[236:237], s[6:7]
	v_add_f64 v[16:17], v[16:17], v[116:117]
	v_mul_f64 v[4:5], v[136:137], s[20:21]
	v_add_f64 v[6:7], v[128:129], v[6:7]
	v_add_f64 v[8:9], v[8:9], v[10:11]
	v_mul_f64 v[10:11], v[234:235], s[6:7]
	v_add_f64 v[14:15], v[14:15], v[16:17]
	v_add_f64 v[4:5], v[162:163], v[4:5]
	;; [unrolled: 1-line block ×3, first 2 shown]
	v_mul_f64 v[8:9], v[134:135], s[20:21]
	v_add_f64 v[10:11], v[10:11], -v[122:123]
	v_add_f64 v[12:13], v[12:13], v[14:15]
	v_add_f64 v[4:5], v[4:5], v[6:7]
	v_mul_f64 v[6:7], v[158:159], s[16:17]
	v_add_f64 v[8:9], v[8:9], -v[154:155]
	v_add_f64 v[10:11], v[10:11], v[12:13]
	v_add_f64 v[6:7], v[6:7], -v[186:187]
	v_add_f64 v[8:9], v[8:9], v[10:11]
	v_accvgpr_read_b32 v10, a106
	v_add_f64 v[6:7], v[6:7], v[8:9]
	v_mul_f64 v[8:9], v[204:205], s[10:11]
	v_accvgpr_read_b32 v11, a107
	v_accvgpr_read_b32 v12, a78
	v_add_f64 v[8:9], v[10:11], v[8:9]
	v_mul_f64 v[10:11], v[168:169], s[22:23]
	v_accvgpr_read_b32 v13, a79
	;; [unrolled: 4-line block ×4, first 2 shown]
	v_add_f64 v[14:15], v[16:17], v[14:15]
	v_accvgpr_read_b32 v18, a126
	v_add_f64 v[14:15], v[22:23], v[14:15]
	v_mul_f64 v[138:139], v[234:235], s[18:19]
	v_accvgpr_read_b32 v19, a127
	v_add_f64 v[12:13], v[12:13], v[14:15]
	v_mul_f64 v[14:15], v[132:133], s[0:1]
	v_mul_f64 v[120:121], v[132:133], s[18:19]
	;; [unrolled: 1-line block ×3, first 2 shown]
	v_add_f64 v[138:139], v[138:139], -v[18:19]
	v_accvgpr_read_b32 v18, a98
	v_add_f64 v[132:133], v[132:133], -v[140:141]
	v_mul_f64 v[140:141], v[202:203], s[10:11]
	v_accvgpr_read_b32 v19, a99
	v_add_f64 v[10:11], v[10:11], v[12:13]
	v_add_f64 v[140:141], v[140:141], -v[18:19]
	v_accvgpr_read_b32 v18, a70
	v_add_f64 v[8:9], v[8:9], v[10:11]
	v_mul_f64 v[126:127], v[146:147], s[18:19]
	v_mul_f64 v[10:11], v[146:147], s[14:15]
	;; [unrolled: 1-line block ×4, first 2 shown]
	v_accvgpr_read_b32 v19, a71
	v_mul_f64 v[2:3], v[184:185], s[16:17]
	v_add_f64 v[146:147], v[146:147], -v[18:19]
	v_accvgpr_read_b32 v18, a46
	v_add_f64 v[2:3], v[230:231], v[2:3]
	v_accvgpr_read_b32 v19, a47
	v_add_f64 v[114:115], v[2:3], v[0:1]
	v_mul_f64 v[2:3], v[160:161], s[16:17]
	v_add_f64 v[128:129], v[128:129], -v[18:19]
	v_accvgpr_read_b32 v18, a22
	v_add_f64 v[2:3], v[190:191], v[2:3]
	v_mul_f64 v[122:123], v[130:131], s[6:7]
	v_accvgpr_read_b32 v19, a23
	v_add_f64 v[2:3], v[2:3], v[4:5]
	v_mul_f64 v[4:5], v[182:183], s[18:19]
	v_add_f64 v[122:123], v[122:123], -v[18:19]
	v_add_f64 v[4:5], v[4:5], -v[220:221]
	v_add_f64 v[122:123], v[20:21], v[122:123]
	v_mul_f64 v[0:1], v[184:185], s[18:19]
	v_add_f64 v[116:117], v[4:5], v[6:7]
	v_mul_f64 v[6:7], v[236:237], s[18:19]
	v_add_f64 v[122:123], v[128:129], v[122:123]
	v_add_f64 v[0:1], v[222:223], v[0:1]
	v_mul_f64 v[4:5], v[136:137], s[0:1]
	v_add_f64 v[6:7], v[252:253], v[6:7]
	v_add_f64 v[122:123], v[146:147], v[122:123]
	;; [unrolled: 1-line block ×3, first 2 shown]
	v_mul_f64 v[2:3], v[160:161], s[14:15]
	v_add_f64 v[4:5], v[150:151], v[4:5]
	v_add_f64 v[6:7], v[6:7], v[8:9]
	;; [unrolled: 1-line block ×4, first 2 shown]
	v_mul_f64 v[16:17], v[130:131], s[0:1]
	v_mul_f64 v[12:13], v[130:131], s[18:19]
	v_add_f64 v[4:5], v[4:5], v[6:7]
	v_mul_f64 v[130:131], v[158:159], s[14:15]
	v_add_f64 v[122:123], v[138:139], v[122:123]
	v_accvgpr_read_b32 v18, a116
	v_mul_f64 v[0:1], v[184:185], s[20:21]
	v_add_f64 v[2:3], v[2:3], v[4:5]
	v_mul_f64 v[4:5], v[182:183], s[20:21]
	v_add_f64 v[130:131], v[130:131], -v[172:173]
	v_mul_f64 v[172:173], v[236:237], s[20:21]
	v_add_f64 v[122:123], v[132:133], v[122:123]
	v_mul_f64 v[132:133], v[136:137], s[16:17]
	v_mul_f64 v[136:137], v[136:137], s[10:11]
	v_accvgpr_read_b32 v19, a117
	v_add_f64 v[0:1], v[218:219], v[0:1]
	v_add_f64 v[4:5], v[4:5], -v[214:215]
	v_add_f64 v[122:123], v[130:131], v[122:123]
	v_add_f64 v[124:125], v[124:125], v[136:137]
	;; [unrolled: 1-line block ×3, first 2 shown]
	v_accvgpr_read_b32 v18, a86
	v_mul_f64 v[150:151], v[168:169], s[6:7]
	v_mul_f64 v[162:163], v[168:169], s[16:17]
	;; [unrolled: 1-line block ×4, first 2 shown]
	v_add_f64 v[2:3], v[0:1], v[2:3]
	v_add_f64 v[0:1], v[4:5], v[122:123]
	v_mul_f64 v[4:5], v[158:159], s[6:7]
	v_mul_f64 v[158:159], v[160:161], s[6:7]
	v_accvgpr_read_b32 v19, a87
	v_add_f64 v[156:157], v[156:157], v[158:159]
	v_add_f64 v[158:159], v[18:19], v[168:169]
	v_accvgpr_read_b32 v18, a62
	v_accvgpr_read_b32 v19, a63
	v_add_f64 v[162:163], v[18:19], v[162:163]
	v_accvgpr_read_b32 v18, a38
	v_mul_f64 v[6:7], v[148:149], s[14:15]
	v_accvgpr_read_b32 v19, a39
	v_add_f64 v[6:7], v[18:19], v[6:7]
	v_accvgpr_read_b32 v18, a20
	v_accvgpr_read_b32 v19, a21
	v_add_f64 v[120:121], v[18:19], v[120:121]
	v_add_f64 v[120:121], v[22:23], v[120:121]
	;; [unrolled: 1-line block ×5, first 2 shown]
	v_accvgpr_read_b32 v18, a110
	v_mul_f64 v[170:171], v[234:235], s[20:21]
	v_mul_f64 v[138:139], v[134:135], s[16:17]
	;; [unrolled: 1-line block ×3, first 2 shown]
	v_add_f64 v[6:7], v[136:137], v[6:7]
	v_accvgpr_read_b32 v19, a111
	v_add_f64 v[6:7], v[124:125], v[6:7]
	v_add_f64 v[124:125], v[134:135], -v[254:255]
	v_add_f64 v[134:135], v[170:171], -v[18:19]
	v_accvgpr_read_b32 v18, a82
	v_mul_f64 v[8:9], v[148:149], s[18:19]
	v_mul_f64 v[148:149], v[166:167], s[6:7]
	;; [unrolled: 1-line block ×4, first 2 shown]
	v_accvgpr_read_b32 v19, a83
	v_add_f64 v[136:137], v[166:167], -v[18:19]
	v_accvgpr_read_b32 v18, a58
	v_accvgpr_read_b32 v19, a59
	v_add_f64 v[4:5], v[4:5], -v[152:153]
	v_add_f64 v[152:153], v[154:155], -v[18:19]
	v_accvgpr_read_b32 v18, a34
	v_accvgpr_read_b32 v19, a35
	v_add_f64 v[10:11], v[10:11], -v[18:19]
	v_accvgpr_read_b32 v18, a18
	v_accvgpr_read_b32 v19, a19
	v_add_f64 v[12:13], v[12:13], -v[18:19]
	v_add_f64 v[12:13], v[20:21], v[12:13]
	v_add_f64 v[10:11], v[10:11], v[12:13]
	v_accvgpr_read_b32 v18, a104
	v_mul_f64 v[140:141], v[236:237], s[10:11]
	v_mul_f64 v[122:123], v[160:161], s[20:21]
	v_add_f64 v[10:11], v[152:153], v[10:11]
	v_accvgpr_read_b32 v19, a105
	v_add_f64 v[10:11], v[136:137], v[10:11]
	v_add_f64 v[12:13], v[144:145], v[122:123]
	;; [unrolled: 1-line block ×3, first 2 shown]
	v_accvgpr_read_b32 v18, a76
	v_mul_f64 v[128:129], v[204:205], s[14:15]
	v_add_f64 v[10:11], v[134:135], v[10:11]
	v_accvgpr_read_b32 v19, a77
	v_add_f64 v[10:11], v[124:125], v[10:11]
	v_add_f64 v[124:125], v[18:19], v[128:129]
	v_accvgpr_read_b32 v18, a54
	v_accvgpr_read_b32 v19, a55
	v_add_f64 v[128:129], v[18:19], v[150:151]
	v_accvgpr_read_b32 v18, a30
	v_accvgpr_read_b32 v19, a31
	;; [unrolled: 3-line block ×3, first 2 shown]
	v_add_f64 v[14:15], v[18:19], v[14:15]
	v_add_f64 v[14:15], v[22:23], v[14:15]
	;; [unrolled: 1-line block ×3, first 2 shown]
	v_mul_f64 v[178:179], v[182:183], s[22:23]
	v_mul_f64 v[182:183], v[182:183], s[0:1]
	v_add_f64 v[8:9], v[128:129], v[8:9]
	v_add_f64 v[120:121], v[182:183], -v[188:189]
	v_add_f64 v[4:5], v[4:5], v[10:11]
	v_add_f64 v[8:9], v[124:125], v[8:9]
	v_accvgpr_read_b32 v18, a100
	v_mul_f64 v[146:147], v[234:235], s[10:11]
	v_add_f64 v[4:5], v[120:121], v[4:5]
	v_add_f64 v[120:121], v[250:251], v[132:133]
	;; [unrolled: 1-line block ×3, first 2 shown]
	v_accvgpr_read_b32 v19, a101
	v_add_f64 v[8:9], v[120:121], v[8:9]
	v_add_f64 v[120:121], v[146:147], -v[18:19]
	v_accvgpr_read_b32 v18, a72
	v_mul_f64 v[164:165], v[202:203], s[14:15]
	v_accvgpr_read_b32 v19, a73
	v_add_f64 v[122:123], v[164:165], -v[18:19]
	v_accvgpr_read_b32 v18, a48
	v_accvgpr_read_b32 v19, a49
	v_add_f64 v[124:125], v[148:149], -v[18:19]
	v_accvgpr_read_b32 v18, a28
	;; [unrolled: 3-line block ×3, first 2 shown]
	v_accvgpr_read_b32 v18, a14
	v_add_f64 v[16:17], v[16:17], -v[18:19]
	v_add_f64 v[16:17], v[20:21], v[16:17]
	v_add_f64 v[16:17], v[126:127], v[16:17]
	v_accvgpr_read_b32 v14, a130
	v_add_f64 v[16:17], v[124:125], v[16:17]
	v_accvgpr_read_b32 v15, a131
	v_add_f64 v[16:17], v[122:123], v[16:17]
	v_mul_f64 v[180:181], v[184:185], s[22:23]
	v_add_f64 v[14:15], v[138:139], -v[14:15]
	v_add_f64 v[16:17], v[120:121], v[16:17]
	v_add_f64 v[10:11], v[176:177], v[180:181]
	;; [unrolled: 1-line block ×3, first 2 shown]
	v_add_f64 v[12:13], v[130:131], -v[142:143]
	v_add_f64 v[14:15], v[14:15], v[16:17]
	v_add_f64 v[10:11], v[10:11], v[8:9]
	v_add_f64 v[8:9], v[178:179], -v[174:175]
	v_add_f64 v[12:13], v[12:13], v[14:15]
	v_add_f64 v[8:9], v[8:9], v[12:13]
	;; [unrolled: 1-line block ×32, first 2 shown]
	v_mul_f64 v[160:161], v[184:185], s[0:1]
	v_add_f64 v[12:13], v[80:81], v[12:13]
	v_accvgpr_read_b32 v16, a3
	v_add_f64 v[160:161], v[200:201], v[160:161]
	v_add_f64 v[6:7], v[156:157], v[6:7]
	;; [unrolled: 1-line block ×3, first 2 shown]
	v_add_lshl_u32 v16, v240, v16, 4
	v_add_f64 v[6:7], v[160:161], v[6:7]
	ds_write_b128 v16, v[12:15]
	ds_write_b128 v16, v[8:11] offset:16
	ds_write_b128 v16, v[4:7] offset:32
	ds_write_b128 v16, v[0:3] offset:48
	ds_write_b128 v16, v[116:119] offset:64
	ds_write_b128 v16, v[112:115] offset:80
	ds_write_b128 v16, v[108:111] offset:96
	ds_write_b128 v16, v[104:107] offset:112
	ds_write_b128 v16, v[96:99] offset:128
	ds_write_b128 v16, v[100:103] offset:144
	ds_write_b128 v16, v[92:95] offset:160
	ds_write_b128 v16, v[88:91] offset:176
	ds_write_b128 v16, a[10:13] offset:192
	ds_write_b128 v16, a[6:9] offset:208
	ds_write_b128 v16, v[246:249] offset:224
	ds_write_b128 v16, v[242:245] offset:240
	ds_write_b128 v16, v[224:227] offset:256
.LBB0_7:
	s_or_b64 exec, exec, s[24:25]
	v_accvgpr_read_b32 v0, a0
	v_add_lshl_u32 v195, v240, v0, 4
	s_waitcnt lgkmcnt(0)
	s_barrier
	ds_read_b128 v[60:63], v195
	ds_read_b128 v[56:59], v195 offset:1088
	ds_read_b128 v[76:79], v195 offset:2720
	;; [unrolled: 1-line block ×7, first 2 shown]
	v_cmp_gt_u16_e64 s[0:1], 34, v0
	s_and_saveexec_b64 s[6:7], s[0:1]
	s_cbranch_execz .LBB0_9
; %bb.8:
	ds_read_b128 v[96:99], v195 offset:2176
	ds_read_b128 v[100:103], v195 offset:4896
	;; [unrolled: 1-line block ×4, first 2 shown]
.LBB0_9:
	s_or_b64 exec, exec, s[6:7]
	v_accvgpr_read_b32 v4, a0
	s_movk_i32 s10, 0xf1
	v_add_u16_e32 v2, 0x44, v4
	v_mul_lo_u16_sdwa v0, v4, s10 dst_sel:DWORD dst_unused:UNUSED_PAD src0_sel:BYTE_0 src1_sel:DWORD
	v_mul_lo_u16_sdwa v3, v2, s10 dst_sel:DWORD dst_unused:UNUSED_PAD src0_sel:BYTE_0 src1_sel:DWORD
	v_lshrrev_b16_e32 v18, 12, v0
	v_lshrrev_b16_e32 v32, 12, v3
	v_mul_lo_u16_e32 v0, 17, v18
	v_mul_lo_u16_e32 v3, 17, v32
	v_sub_u16_e32 v0, v4, v0
	v_sub_u16_e32 v2, v2, v3
	v_and_b32_e32 v19, 0xff, v0
	v_and_b32_e32 v33, 0xff, v2
	v_mad_u64_u32 v[0:1], s[6:7], v19, 48, s[2:3]
	v_mad_u64_u32 v[2:3], s[6:7], v33, 48, s[2:3]
	global_load_dwordx4 v[38:41], v[0:1], off offset:16
	global_load_dwordx4 v[110:113], v[0:1], off
	global_load_dwordx4 v[114:117], v[2:3], off offset:32
	global_load_dwordx4 v[118:121], v[2:3], off offset:16
	;; [unrolled: 1-line block ×3, first 2 shown]
	global_load_dwordx4 v[126:129], v[2:3], off
	v_add_u16_e32 v0, 0x88, v4
	v_mul_lo_u16_sdwa v1, v0, s10 dst_sel:DWORD dst_unused:UNUSED_PAD src0_sel:BYTE_0 src1_sel:DWORD
	v_lshrrev_b16_e32 v44, 12, v1
	v_mul_lo_u16_e32 v1, 17, v44
	v_sub_u16_e32 v0, v0, v1
	v_and_b32_e32 v45, 0xff, v0
	v_mad_u64_u32 v[0:1], s[6:7], v45, 48, s[2:3]
	global_load_dwordx4 v[50:53], v[0:1], off
	global_load_dwordx4 v[34:37], v[0:1], off offset:16
	global_load_dwordx4 v[46:49], v[0:1], off offset:32
	s_load_dwordx4 s[4:7], s[4:5], 0x0
	s_waitcnt lgkmcnt(0)
	s_barrier
	s_waitcnt vmcnt(6)
	v_mul_f64 v[22:23], v[74:75], v[116:117]
	v_mul_f64 v[4:5], v[82:83], v[40:41]
	;; [unrolled: 1-line block ×4, first 2 shown]
	s_waitcnt vmcnt(4)
	v_mul_f64 v[8:9], v[86:87], v[124:125]
	v_mul_f64 v[2:3], v[76:77], v[112:113]
	;; [unrolled: 1-line block ×3, first 2 shown]
	s_waitcnt vmcnt(3)
	v_mul_f64 v[12:13], v[66:67], v[128:129]
	v_mul_f64 v[16:17], v[64:65], v[128:129]
	;; [unrolled: 1-line block ×4, first 2 shown]
	s_waitcnt vmcnt(2)
	v_mul_f64 v[26:27], v[102:103], v[52:53]
	v_fma_f64 v[0:1], v[76:77], v[110:111], -v[0:1]
	v_fma_f64 v[4:5], v[80:81], v[38:39], -v[4:5]
	v_fmac_f64_e32 v[6:7], v[82:83], v[38:39]
	v_fma_f64 v[8:9], v[84:85], v[122:123], -v[8:9]
	v_mul_f64 v[20:21], v[68:69], v[120:121]
	s_waitcnt vmcnt(1)
	v_mul_f64 v[106:107], v[92:93], v[36:37]
	s_waitcnt vmcnt(0)
	v_mul_f64 v[30:31], v[90:91], v[48:49]
	v_fmac_f64_e32 v[2:3], v[78:79], v[110:111]
	v_fmac_f64_e32 v[10:11], v[86:87], v[122:123]
	v_fma_f64 v[12:13], v[64:65], v[126:127], -v[12:13]
	v_fmac_f64_e32 v[16:17], v[66:67], v[126:127]
	v_fma_f64 v[14:15], v[68:69], v[118:119], -v[14:15]
	v_fma_f64 v[22:23], v[72:73], v[114:115], -v[22:23]
	v_fmac_f64_e32 v[24:25], v[74:75], v[114:115]
	v_fma_f64 v[68:69], v[100:101], v[50:51], -v[26:27]
	v_add_f64 v[4:5], v[60:61], -v[4:5]
	v_add_f64 v[6:7], v[62:63], -v[6:7]
	;; [unrolled: 1-line block ×3, first 2 shown]
	v_mul_f64 v[28:29], v[94:95], v[36:37]
	v_fmac_f64_e32 v[106:107], v[94:95], v[34:35]
	v_fma_f64 v[72:73], v[88:89], v[46:47], -v[30:31]
	v_add_f64 v[8:9], v[2:3], -v[10:11]
	v_add_f64 v[74:75], v[12:13], -v[22:23]
	;; [unrolled: 1-line block ×3, first 2 shown]
	v_fma_f64 v[24:25], v[60:61], 2.0, -v[4:5]
	v_fma_f64 v[0:1], v[0:1], 2.0, -v[26:27]
	v_add_f64 v[10:11], v[6:7], v[26:27]
	v_fmac_f64_e32 v[20:21], v[70:71], v[118:119]
	v_fma_f64 v[70:71], v[92:93], v[34:35], -v[28:29]
	v_fma_f64 v[28:29], v[62:63], 2.0, -v[6:7]
	v_fma_f64 v[2:3], v[2:3], 2.0, -v[8:9]
	;; [unrolled: 1-line block ×3, first 2 shown]
	v_add_f64 v[12:13], v[24:25], -v[0:1]
	v_fma_f64 v[22:23], v[6:7], 2.0, -v[10:11]
	v_fma_f64 v[0:1], v[16:17], 2.0, -v[76:77]
	v_add_f64 v[6:7], v[98:99], -v[106:107]
	v_add_f64 v[16:17], v[68:69], -v[72:73]
	v_add_f64 v[64:65], v[56:57], -v[14:15]
	v_add_f64 v[14:15], v[28:29], -v[2:3]
	v_fma_f64 v[2:3], v[98:99], 2.0, -v[6:7]
	v_fma_f64 v[68:69], v[68:69], 2.0, -v[16:17]
	v_add_f64 v[98:99], v[6:7], v[16:17]
	v_mul_u32_u24_e32 v16, 0x44, v18
	v_add_u32_e32 v16, v16, v19
	v_mul_f64 v[104:105], v[100:101], v[52:53]
	v_mul_f64 v[108:109], v[88:89], v[48:49]
	v_add_f64 v[8:9], v[4:5], -v[8:9]
	v_fma_f64 v[24:25], v[24:25], 2.0, -v[12:13]
	v_fma_f64 v[26:27], v[28:29], 2.0, -v[14:15]
	v_add_lshl_u32 v16, v240, v16, 4
	v_fmac_f64_e32 v[104:105], v[102:103], v[50:51]
	v_fmac_f64_e32 v[108:109], v[90:91], v[46:47]
	v_add_f64 v[66:67], v[58:59], -v[20:21]
	v_fma_f64 v[20:21], v[4:5], 2.0, -v[8:9]
	ds_write_b128 v16, v[24:27]
	ds_write_b128 v16, v[20:23] offset:272
	ds_write_b128 v16, v[12:15] offset:544
	ds_write_b128 v16, v[8:11] offset:816
	v_mul_u32_u24_e32 v8, 0x44, v32
	v_fma_f64 v[56:57], v[56:57], 2.0, -v[64:65]
	v_fma_f64 v[58:59], v[58:59], 2.0, -v[66:67]
	v_add_f64 v[4:5], v[96:97], -v[70:71]
	v_add_f64 v[70:71], v[104:105], -v[108:109]
	v_add_u32_e32 v8, v8, v33
	v_accvgpr_write_b32 a24, v110
	v_accvgpr_write_b32 a20, v38
	;; [unrolled: 1-line block ×7, first 2 shown]
	v_add_f64 v[28:29], v[56:57], -v[30:31]
	v_add_f64 v[30:31], v[58:59], -v[0:1]
	v_fma_f64 v[0:1], v[96:97], 2.0, -v[4:5]
	v_fma_f64 v[72:73], v[104:105], 2.0, -v[70:71]
	v_add_lshl_u32 v8, v240, v8, 4
	v_accvgpr_write_b32 a25, v111
	v_accvgpr_write_b32 a26, v112
	;; [unrolled: 1-line block ×21, first 2 shown]
	v_fma_f64 v[56:57], v[56:57], 2.0, -v[28:29]
	v_fma_f64 v[58:59], v[58:59], 2.0, -v[30:31]
	v_add_f64 v[60:61], v[64:65], -v[76:77]
	v_add_f64 v[62:63], v[66:67], v[74:75]
	v_add_f64 v[92:93], v[0:1], -v[68:69]
	v_add_f64 v[94:95], v[2:3], -v[72:73]
	;; [unrolled: 1-line block ×3, first 2 shown]
	v_accvgpr_write_b32 a48, v16
	v_accvgpr_write_b32 a49, v8
	v_fma_f64 v[64:65], v[64:65], 2.0, -v[60:61]
	v_fma_f64 v[66:67], v[66:67], 2.0, -v[62:63]
	ds_write_b128 v8, v[56:59]
	ds_write_b128 v8, v[64:67] offset:272
	ds_write_b128 v8, v[28:31] offset:544
	;; [unrolled: 1-line block ×3, first 2 shown]
	s_mov_b64 s[10:11], exec
	v_accvgpr_read_b32 v39, a9
	v_accvgpr_read_b32 v43, a13
	s_and_b64 s[14:15], s[10:11], s[0:1]
	v_accvgpr_read_b32 v38, a8
	v_accvgpr_read_b32 v37, a7
	;; [unrolled: 1-line block ×6, first 2 shown]
	s_mov_b64 exec, s[14:15]
	s_cbranch_execz .LBB0_11
; %bb.10:
	v_mul_u32_u24_e32 v8, 0x44, v44
	v_add_u32_e32 v8, v8, v45
	v_fma_f64 v[2:3], v[2:3], 2.0, -v[94:95]
	v_fma_f64 v[0:1], v[0:1], 2.0, -v[92:93]
	v_add_lshl_u32 v8, v240, v8, 4
	v_fma_f64 v[6:7], v[6:7], 2.0, -v[98:99]
	v_fma_f64 v[4:5], v[4:5], 2.0, -v[96:97]
	ds_write_b128 v8, v[0:3]
	ds_write_b128 v8, v[4:7] offset:272
	ds_write_b128 v8, v[92:95] offset:544
	;; [unrolled: 1-line block ×3, first 2 shown]
.LBB0_11:
	s_or_b64 exec, exec, s[10:11]
	s_movk_i32 s10, 0x90
	v_mov_b64_e32 v[0:1], s[2:3]
	v_accvgpr_read_b32 v18, a0
	v_mad_u64_u32 v[0:1], s[2:3], v18, s10, v[0:1]
	s_waitcnt lgkmcnt(0)
	s_barrier
	global_load_dwordx4 v[68:71], v[0:1], off offset:816
	global_load_dwordx4 v[58:61], v[0:1], off offset:832
	;; [unrolled: 1-line block ×9, first 2 shown]
	ds_read_b128 v[132:135], v195
	ds_read_b128 v[0:3], v195 offset:1088
	ds_read_b128 v[4:7], v195 offset:2176
	;; [unrolled: 1-line block ×9, first 2 shown]
	s_mov_b32 s16, 0x134454ff
	s_mov_b32 s17, 0x3fee6f0e
	;; [unrolled: 1-line block ×12, first 2 shown]
	s_waitcnt vmcnt(8) lgkmcnt(8)
	v_mul_f64 v[114:115], v[0:1], v[70:71]
	s_waitcnt vmcnt(7) lgkmcnt(7)
	v_mul_f64 v[110:111], v[4:5], v[60:61]
	;; [unrolled: 2-line block ×4, first 2 shown]
	v_mul_f64 v[108:109], v[6:7], v[60:61]
	s_waitcnt vmcnt(3) lgkmcnt(3)
	v_mul_f64 v[126:127], v[26:27], v[82:83]
	v_mul_f64 v[112:113], v[10:11], v[34:35]
	;; [unrolled: 1-line block ×4, first 2 shown]
	s_waitcnt vmcnt(1) lgkmcnt(1)
	v_mul_f64 v[138:139], v[102:103], v[74:75]
	v_mul_f64 v[140:141], v[100:101], v[74:75]
	v_fmac_f64_e32 v[110:111], v[6:7], v[58:59]
	v_fmac_f64_e32 v[116:117], v[10:11], v[32:33]
	v_fma_f64 v[6:7], v[12:13], v[54:55], -v[118:119]
	v_fma_f64 v[10:11], v[24:25], v[80:81], -v[126:127]
	v_mul_f64 v[16:17], v[2:3], v[70:71]
	v_mul_f64 v[122:123], v[22:23], v[86:87]
	;; [unrolled: 1-line block ×5, first 2 shown]
	v_fmac_f64_e32 v[114:115], v[2:3], v[68:69]
	v_fma_f64 v[2:3], v[4:5], v[58:59], -v[108:109]
	v_fmac_f64_e32 v[120:121], v[14:15], v[54:55]
	v_fmac_f64_e32 v[124:125], v[22:23], v[84:85]
	v_fma_f64 v[14:15], v[100:101], v[72:73], -v[138:139]
	v_fmac_f64_e32 v[140:141], v[102:103], v[72:73]
	v_add_f64 v[22:23], v[6:7], v[10:11]
	v_fmac_f64_e32 v[128:129], v[26:27], v[80:81]
	v_fma_f64 v[12:13], v[28:29], v[76:77], -v[130:131]
	v_fmac_f64_e32 v[136:137], v[30:31], v[76:77]
	v_add_f64 v[24:25], v[110:111], -v[140:141]
	v_add_f64 v[28:29], v[2:3], -v[6:7]
	;; [unrolled: 1-line block ×3, first 2 shown]
	v_fma_f64 v[22:23], -0.5, v[22:23], v[132:133]
	v_add_f64 v[26:27], v[120:121], -v[128:129]
	v_add_f64 v[28:29], v[28:29], v[30:31]
	v_fma_f64 v[30:31], s[16:17], v[24:25], v[22:23]
	v_fmac_f64_e32 v[22:23], s[10:11], v[24:25]
	v_fmac_f64_e32 v[30:31], s[18:19], v[26:27]
	;; [unrolled: 1-line block ×5, first 2 shown]
	v_add_f64 v[28:29], v[2:3], v[14:15]
	v_fma_f64 v[4:5], v[8:9], v[32:33], -v[112:113]
	v_fma_f64 v[8:9], v[20:21], v[84:85], -v[122:123]
	v_add_f64 v[20:21], v[132:133], v[2:3]
	v_fmac_f64_e32 v[132:133], -0.5, v[28:29]
	v_add_f64 v[20:21], v[20:21], v[6:7]
	v_fma_f64 v[28:29], s[10:11], v[26:27], v[132:133]
	v_add_f64 v[100:101], v[6:7], -v[2:3]
	v_add_f64 v[102:103], v[10:11], -v[14:15]
	v_fmac_f64_e32 v[132:133], s[16:17], v[26:27]
	v_add_f64 v[26:27], v[120:121], v[128:129]
	v_add_f64 v[20:21], v[20:21], v[10:11]
	v_fmac_f64_e32 v[28:29], s[18:19], v[24:25]
	v_add_f64 v[100:101], v[100:101], v[102:103]
	v_fmac_f64_e32 v[132:133], s[14:15], v[24:25]
	v_fma_f64 v[26:27], -0.5, v[26:27], v[134:135]
	v_add_f64 v[2:3], v[2:3], -v[14:15]
	v_add_f64 v[20:21], v[20:21], v[14:15]
	v_fmac_f64_e32 v[28:29], s[2:3], v[100:101]
	v_fmac_f64_e32 v[132:133], s[2:3], v[100:101]
	v_fma_f64 v[14:15], s[10:11], v[2:3], v[26:27]
	v_add_f64 v[6:7], v[6:7], -v[10:11]
	v_add_f64 v[10:11], v[110:111], -v[120:121]
	;; [unrolled: 1-line block ×3, first 2 shown]
	v_fmac_f64_e32 v[26:27], s[16:17], v[2:3]
	v_fmac_f64_e32 v[14:15], s[14:15], v[6:7]
	v_add_f64 v[10:11], v[10:11], v[100:101]
	v_fmac_f64_e32 v[26:27], s[18:19], v[6:7]
	v_fmac_f64_e32 v[14:15], s[2:3], v[10:11]
	;; [unrolled: 1-line block ×3, first 2 shown]
	v_add_f64 v[10:11], v[110:111], v[140:141]
	v_add_f64 v[24:25], v[134:135], v[110:111]
	v_fmac_f64_e32 v[134:135], -0.5, v[10:11]
	s_waitcnt vmcnt(0) lgkmcnt(0)
	v_mul_f64 v[144:145], v[104:105], v[90:91]
	v_fma_f64 v[10:11], s[16:17], v[6:7], v[134:135]
	v_add_f64 v[100:101], v[120:121], -v[110:111]
	v_add_f64 v[102:103], v[128:129], -v[140:141]
	v_fmac_f64_e32 v[134:135], s[10:11], v[6:7]
	v_mul_f64 v[142:143], v[106:107], v[90:91]
	v_fma_f64 v[0:1], v[0:1], v[68:69], -v[16:17]
	v_fmac_f64_e32 v[144:145], v[106:107], v[88:89]
	v_fmac_f64_e32 v[10:11], s[14:15], v[2:3]
	v_add_f64 v[100:101], v[100:101], v[102:103]
	v_fmac_f64_e32 v[134:135], s[18:19], v[2:3]
	v_add_f64 v[6:7], v[8:9], v[12:13]
	v_fma_f64 v[16:17], v[104:105], v[88:89], -v[142:143]
	v_fmac_f64_e32 v[10:11], s[2:3], v[100:101]
	v_fmac_f64_e32 v[134:135], s[2:3], v[100:101]
	v_fma_f64 v[6:7], -0.5, v[6:7], v[0:1]
	v_add_f64 v[100:101], v[116:117], -v[144:145]
	v_fma_f64 v[106:107], s[16:17], v[100:101], v[6:7]
	v_add_f64 v[102:103], v[124:125], -v[136:137]
	v_add_f64 v[104:105], v[4:5], -v[8:9]
	;; [unrolled: 1-line block ×3, first 2 shown]
	v_fmac_f64_e32 v[6:7], s[10:11], v[100:101]
	v_fmac_f64_e32 v[106:107], s[18:19], v[102:103]
	v_add_f64 v[104:105], v[104:105], v[108:109]
	v_fmac_f64_e32 v[6:7], s[14:15], v[102:103]
	v_fmac_f64_e32 v[106:107], s[2:3], v[104:105]
	;; [unrolled: 1-line block ×3, first 2 shown]
	v_add_f64 v[104:105], v[4:5], v[16:17]
	v_add_f64 v[2:3], v[0:1], v[4:5]
	v_fmac_f64_e32 v[0:1], -0.5, v[104:105]
	v_fma_f64 v[110:111], s[10:11], v[102:103], v[0:1]
	v_fmac_f64_e32 v[0:1], s[16:17], v[102:103]
	v_fmac_f64_e32 v[110:111], s[18:19], v[100:101]
	v_fmac_f64_e32 v[0:1], s[14:15], v[100:101]
	v_add_f64 v[100:101], v[114:115], v[116:117]
	v_add_f64 v[100:101], v[100:101], v[124:125]
	;; [unrolled: 1-line block ×7, first 2 shown]
	v_add_f64 v[104:105], v[8:9], -v[4:5]
	v_fma_f64 v[118:119], -0.5, v[100:101], v[114:115]
	v_add_f64 v[4:5], v[4:5], -v[16:17]
	v_add_f64 v[2:3], v[2:3], v[16:17]
	v_add_f64 v[108:109], v[12:13], -v[16:17]
	v_fma_f64 v[16:17], s[10:11], v[4:5], v[118:119]
	v_add_f64 v[8:9], v[8:9], -v[12:13]
	v_add_f64 v[12:13], v[116:117], -v[124:125]
	;; [unrolled: 1-line block ×3, first 2 shown]
	v_fmac_f64_e32 v[118:119], s[16:17], v[4:5]
	v_fmac_f64_e32 v[16:17], s[14:15], v[8:9]
	v_add_f64 v[12:13], v[12:13], v[100:101]
	v_fmac_f64_e32 v[118:119], s[18:19], v[8:9]
	v_fmac_f64_e32 v[16:17], s[2:3], v[12:13]
	;; [unrolled: 1-line block ×3, first 2 shown]
	v_add_f64 v[12:13], v[116:117], v[144:145]
	v_fmac_f64_e32 v[114:115], -0.5, v[12:13]
	v_add_f64 v[104:105], v[104:105], v[108:109]
	v_fma_f64 v[12:13], s[16:17], v[8:9], v[114:115]
	v_add_f64 v[100:101], v[124:125], -v[116:117]
	v_add_f64 v[102:103], v[136:137], -v[144:145]
	v_fmac_f64_e32 v[114:115], s[10:11], v[8:9]
	v_fmac_f64_e32 v[110:111], s[2:3], v[104:105]
	;; [unrolled: 1-line block ×3, first 2 shown]
	v_add_f64 v[100:101], v[100:101], v[102:103]
	v_fmac_f64_e32 v[114:115], s[18:19], v[4:5]
	v_mul_f64 v[138:139], v[106:107], s[14:15]
	v_fmac_f64_e32 v[0:1], s[2:3], v[104:105]
	v_fmac_f64_e32 v[12:13], s[2:3], v[100:101]
	;; [unrolled: 1-line block ×3, first 2 shown]
	v_mul_f64 v[4:5], v[16:17], s[18:19]
	v_fmac_f64_e32 v[138:139], s[20:21], v[16:17]
	v_mul_f64 v[16:17], v[110:111], s[10:11]
	v_add_f64 v[24:25], v[24:25], v[120:121]
	v_mul_f64 v[8:9], v[12:13], s[16:17]
	v_mul_f64 v[102:103], v[0:1], s[2:3]
	v_fmac_f64_e32 v[16:17], s[2:3], v[12:13]
	v_mul_f64 v[12:13], v[114:115], s[2:3]
	v_add_f64 v[24:25], v[24:25], v[128:129]
	v_fma_f64 v[126:127], v[114:115], s[16:17], -v[102:103]
	v_mul_f64 v[102:103], v[6:7], s[20:21]
	v_fma_f64 v[0:1], v[0:1], s[10:11], -v[12:13]
	v_mul_f64 v[12:13], v[118:119], s[20:21]
	v_accvgpr_write_b32 a54, v58
	v_accvgpr_write_b32 a53, v35
	v_add_f64 v[24:25], v[24:25], v[140:141]
	v_fmac_f64_e32 v[4:5], s[20:21], v[106:107]
	v_fmac_f64_e32 v[8:9], s[2:3], v[110:111]
	v_fma_f64 v[130:131], v[118:119], s[18:19], -v[102:103]
	v_add_f64 v[114:115], v[134:135], v[0:1]
	v_fma_f64 v[6:7], v[6:7], s[14:15], -v[12:13]
	v_add_f64 v[134:135], v[134:135], -v[0:1]
	v_accvgpr_read_b32 v0, a1
	v_accvgpr_write_b32 a55, v59
	v_accvgpr_write_b32 a56, v60
	;; [unrolled: 1-line block ×6, first 2 shown]
	v_add_f64 v[100:101], v[20:21], v[2:3]
	v_add_f64 v[104:105], v[30:31], v[4:5]
	;; [unrolled: 1-line block ×9, first 2 shown]
	v_add_f64 v[120:121], v[20:21], -v[2:3]
	v_add_f64 v[124:125], v[30:31], -v[4:5]
	;; [unrolled: 1-line block ×9, first 2 shown]
	v_lshl_add_u32 v194, v18, 4, v0
	ds_write_b128 v194, v[100:103]
	ds_write_b128 v194, v[104:107] offset:1088
	ds_write_b128 v194, v[108:111] offset:2176
	ds_write_b128 v194, v[112:115] offset:3264
	ds_write_b128 v194, v[116:119] offset:4352
	ds_write_b128 v194, v[120:123] offset:5440
	ds_write_b128 v194, v[124:127] offset:6528
	ds_write_b128 v194, v[128:131] offset:7616
	ds_write_b128 v194, v[132:135] offset:8704
	ds_write_b128 v194, v[136:139] offset:9792
	s_waitcnt lgkmcnt(0)
	s_barrier
	s_and_saveexec_b64 s[10:11], vcc
	s_cbranch_execz .LBB0_13
; %bb.12:
	s_add_u32 s14, s8, 0x2a80
	s_addc_u32 s15, s9, 0
	v_accvgpr_read_b32 v14, a2
	global_load_dwordx4 v[4:7], v14, s[14:15]
	ds_read_b128 v[0:3], v194
	v_mov_b32_e32 v15, 0
	v_lshl_add_u64 v[140:141], s[14:15], 0, v[14:15]
	s_movk_i32 s2, 0x1000
	v_add_co_u32_e64 v142, s[2:3], s2, v140
	s_waitcnt vmcnt(0) lgkmcnt(0)
	v_mul_f64 v[8:9], v[2:3], v[6:7]
	v_mul_f64 v[10:11], v[0:1], v[6:7]
	v_fma_f64 v[8:9], v[0:1], v[4:5], -v[8:9]
	v_fmac_f64_e32 v[10:11], v[2:3], v[4:5]
	global_load_dwordx4 v[4:7], v14, s[14:15] offset:640
	ds_read_b128 v[0:3], v194 offset:640
	ds_write_b128 v194, v[8:11]
	v_addc_co_u32_e64 v143, s[2:3], 0, v141, s[2:3]
	s_movk_i32 s2, 0x2000
	s_nop 0
	v_add_co_u32_e64 v12, s[2:3], s2, v140
	s_waitcnt vmcnt(0) lgkmcnt(1)
	v_mul_f64 v[8:9], v[2:3], v[6:7]
	v_mul_f64 v[10:11], v[0:1], v[6:7]
	v_fma_f64 v[8:9], v[0:1], v[4:5], -v[8:9]
	v_fmac_f64_e32 v[10:11], v[2:3], v[4:5]
	global_load_dwordx4 v[4:7], v14, s[14:15] offset:1280
	ds_read_b128 v[0:3], v194 offset:1280
	ds_write_b128 v194, v[8:11] offset:640
	v_addc_co_u32_e64 v13, s[2:3], 0, v141, s[2:3]
	s_waitcnt vmcnt(0) lgkmcnt(1)
	v_mul_f64 v[8:9], v[2:3], v[6:7]
	v_mul_f64 v[10:11], v[0:1], v[6:7]
	v_fma_f64 v[8:9], v[0:1], v[4:5], -v[8:9]
	v_fmac_f64_e32 v[10:11], v[2:3], v[4:5]
	global_load_dwordx4 v[4:7], v14, s[14:15] offset:1920
	ds_read_b128 v[0:3], v194 offset:1920
	ds_write_b128 v194, v[8:11] offset:1280
	s_waitcnt vmcnt(0) lgkmcnt(1)
	v_mul_f64 v[8:9], v[2:3], v[6:7]
	v_mul_f64 v[10:11], v[0:1], v[6:7]
	v_fma_f64 v[8:9], v[0:1], v[4:5], -v[8:9]
	v_fmac_f64_e32 v[10:11], v[2:3], v[4:5]
	global_load_dwordx4 v[4:7], v14, s[14:15] offset:2560
	ds_read_b128 v[0:3], v194 offset:2560
	ds_write_b128 v194, v[8:11] offset:1920
	;; [unrolled: 8-line block ×4, first 2 shown]
	s_waitcnt vmcnt(0) lgkmcnt(1)
	v_mul_f64 v[8:9], v[2:3], v[6:7]
	v_mul_f64 v[10:11], v[0:1], v[6:7]
	v_fma_f64 v[8:9], v[0:1], v[4:5], -v[8:9]
	v_fmac_f64_e32 v[10:11], v[2:3], v[4:5]
	global_load_dwordx4 v[4:7], v[142:143], off offset:384
	ds_read_b128 v[0:3], v194 offset:4480
	ds_write_b128 v194, v[8:11] offset:3840
	s_waitcnt vmcnt(0) lgkmcnt(1)
	v_mul_f64 v[8:9], v[2:3], v[6:7]
	v_mul_f64 v[10:11], v[0:1], v[6:7]
	v_fma_f64 v[8:9], v[0:1], v[4:5], -v[8:9]
	v_fmac_f64_e32 v[10:11], v[2:3], v[4:5]
	v_or_b32_e32 v4, 0x1400, v14
	global_load_dwordx4 v[4:7], v4, s[14:15]
	ds_read_b128 v[0:3], v194 offset:5120
	ds_write_b128 v194, v[8:11] offset:4480
	s_waitcnt vmcnt(0) lgkmcnt(1)
	v_mul_f64 v[8:9], v[2:3], v[6:7]
	v_mul_f64 v[10:11], v[0:1], v[6:7]
	v_fma_f64 v[8:9], v[0:1], v[4:5], -v[8:9]
	v_fmac_f64_e32 v[10:11], v[2:3], v[4:5]
	global_load_dwordx4 v[4:7], v[142:143], off offset:1664
	ds_read_b128 v[0:3], v194 offset:5760
	ds_write_b128 v194, v[8:11] offset:5120
	s_waitcnt vmcnt(0) lgkmcnt(1)
	v_mul_f64 v[8:9], v[2:3], v[6:7]
	v_mul_f64 v[10:11], v[0:1], v[6:7]
	v_fma_f64 v[8:9], v[0:1], v[4:5], -v[8:9]
	v_fmac_f64_e32 v[10:11], v[2:3], v[4:5]
	global_load_dwordx4 v[4:7], v[142:143], off offset:2304
	;; [unrolled: 8-line block ×4, first 2 shown]
	ds_read_b128 v[0:3], v194 offset:7680
	ds_read_b128 v[140:143], v194 offset:10240
	ds_write_b128 v194, v[8:11] offset:7040
	s_waitcnt vmcnt(0) lgkmcnt(2)
	v_mul_f64 v[8:9], v[2:3], v[6:7]
	v_mul_f64 v[10:11], v[0:1], v[6:7]
	v_fma_f64 v[8:9], v[0:1], v[4:5], -v[8:9]
	v_fmac_f64_e32 v[10:11], v[2:3], v[4:5]
	global_load_dwordx4 v[4:7], v[12:13], off offset:128
	ds_read_b128 v[0:3], v194 offset:8320
	ds_write_b128 v194, v[8:11] offset:7680
	s_waitcnt vmcnt(0) lgkmcnt(1)
	v_mul_f64 v[8:9], v[2:3], v[6:7]
	v_mul_f64 v[10:11], v[0:1], v[6:7]
	v_fma_f64 v[8:9], v[0:1], v[4:5], -v[8:9]
	v_fmac_f64_e32 v[10:11], v[2:3], v[4:5]
	global_load_dwordx4 v[4:7], v[12:13], off offset:768
	;; [unrolled: 8-line block ×3, first 2 shown]
	ds_read_b128 v[0:3], v194 offset:9600
	ds_write_b128 v194, v[8:11] offset:8960
	s_waitcnt vmcnt(0) lgkmcnt(1)
	v_mul_f64 v[8:9], v[2:3], v[6:7]
	v_fma_f64 v[8:9], v[0:1], v[4:5], -v[8:9]
	v_mul_f64 v[10:11], v[0:1], v[6:7]
	v_or_b32_e32 v0, 0x2800, v14
	global_load_dwordx4 v[144:147], v0, s[14:15]
	v_fmac_f64_e32 v[10:11], v[2:3], v[4:5]
	ds_write_b128 v194, v[8:11] offset:9600
	s_waitcnt vmcnt(0)
	v_mul_f64 v[0:1], v[142:143], v[146:147]
	v_mul_f64 v[2:3], v[140:141], v[146:147]
	v_fma_f64 v[0:1], v[140:141], v[144:145], -v[0:1]
	v_fmac_f64_e32 v[2:3], v[142:143], v[144:145]
	ds_write_b128 v194, v[0:3] offset:10240
.LBB0_13:
	s_or_b64 exec, exec, s[10:11]
	s_waitcnt lgkmcnt(0)
	s_barrier
	s_and_saveexec_b64 s[2:3], vcc
	s_cbranch_execz .LBB0_15
; %bb.14:
	ds_read_b128 v[100:103], v194
	ds_read_b128 v[104:107], v194 offset:640
	ds_read_b128 v[108:111], v194 offset:1280
	;; [unrolled: 1-line block ×16, first 2 shown]
.LBB0_15:
	s_or_b64 exec, exec, s[2:3]
	s_mov_b32 s16, 0x6c9a05f6
	s_waitcnt lgkmcnt(0)
	v_add_f64 v[202:203], v[106:107], -v[226:227]
	s_mov_b32 s2, 0x6ed5f1bb
	s_mov_b32 s17, 0xbfe9895b
	;; [unrolled: 1-line block ×3, first 2 shown]
	v_add_f64 v[198:199], v[224:225], v[104:105]
	v_add_f64 v[200:201], v[226:227], v[106:107]
	s_mov_b32 s3, 0xbfe348c8
	v_mul_f64 v[158:159], v[202:203], s[16:17]
	s_mov_b32 s20, 0x4363dd80
	v_add_f64 v[210:211], v[110:111], -v[244:245]
	s_mov_b32 s18, 0xc61f0d01
	s_mov_b32 s41, 0x3feec746
	v_add_f64 v[206:207], v[104:105], -v[224:225]
	v_mul_f64 v[160:161], v[200:201], s[2:3]
	v_fma_f64 v[0:1], v[198:199], s[2:3], -v[158:159]
	s_mov_b32 s10, 0x910ea3b9
	s_mov_b32 s21, 0xbfe0d888
	v_add_f64 v[204:205], v[242:243], v[108:109]
	v_add_f64 v[208:209], v[244:245], v[110:111]
	s_mov_b32 s19, 0xbfd183b1
	v_mul_f64 v[164:165], v[210:211], s[40:41]
	s_mov_b32 s42, 0x7c9e640b
	v_add_f64 v[0:1], v[100:101], v[0:1]
	v_fma_f64 v[2:3], s[16:17], v[206:207], v[160:161]
	s_mov_b32 s11, 0xbfeb34fa
	v_mul_f64 v[162:163], v[202:203], s[20:21]
	v_add_f64 v[214:215], v[108:109], -v[242:243]
	v_mul_f64 v[166:167], v[208:209], s[18:19]
	v_fma_f64 v[16:17], v[204:205], s[18:19], -v[164:165]
	s_mov_b32 s22, 0x2b2883cd
	s_mov_b32 s43, 0x3feca52d
	v_add_f64 v[2:3], v[102:103], v[2:3]
	v_mul_f64 v[168:169], v[200:201], s[10:11]
	v_fma_f64 v[4:5], v[198:199], s[10:11], -v[162:163]
	s_mov_b32 s24, 0xacd6c6b4
	v_add_f64 v[0:1], v[16:17], v[0:1]
	v_fma_f64 v[16:17], s[40:41], v[214:215], v[166:167]
	s_mov_b32 s23, 0x3fdc86fa
	v_mul_f64 v[172:173], v[210:211], s[42:43]
	v_add_f64 v[4:5], v[100:101], v[4:5]
	v_fma_f64 v[6:7], s[20:21], v[206:207], v[168:169]
	s_mov_b32 s25, 0xbfc7851a
	s_mov_b32 s14, 0x7faef3
	v_add_f64 v[2:3], v[16:17], v[2:3]
	v_mul_f64 v[176:177], v[208:209], s[22:23]
	v_fma_f64 v[16:17], v[204:205], s[22:23], -v[172:173]
	s_mov_b32 s46, 0x5d8e7cdc
	v_add_f64 v[6:7], v[102:103], v[6:7]
	v_mul_f64 v[8:9], v[202:203], s[24:25]
	s_mov_b32 s15, 0xbfef7484
	v_add_f64 v[4:5], v[16:17], v[4:5]
	v_fma_f64 v[16:17], s[42:43], v[214:215], v[176:177]
	s_mov_b32 s47, 0x3fd71e95
	s_mov_b32 s26, 0x370991
	v_fma_f64 v[10:11], s[14:15], v[198:199], v[8:9]
	v_fma_f64 v[8:9], v[198:199], s[14:15], -v[8:9]
	v_add_f64 v[6:7], v[16:17], v[6:7]
	v_mul_f64 v[16:17], v[210:211], s[46:47]
	s_mov_b32 s27, 0x3fedd6d0
	s_mov_b32 s31, 0xbfd71e95
	;; [unrolled: 1-line block ×3, first 2 shown]
	v_add_f64 v[220:221], v[114:115], -v[248:249]
	v_add_f64 v[8:9], v[100:101], v[8:9]
	v_fma_f64 v[20:21], s[26:27], v[204:205], v[16:17]
	v_fma_f64 v[16:17], v[204:205], s[26:27], -v[16:17]
	v_add_f64 v[212:213], v[112:113], v[246:247]
	v_add_f64 v[216:217], v[114:115], v[248:249]
	v_accvgpr_write_b32 a58, v224
	v_mul_f64 v[170:171], v[220:221], s[30:31]
	s_mov_b32 s36, 0xeb564b22
	v_add_f64 v[8:9], v[16:17], v[8:9]
	v_accvgpr_write_b32 a59, v225
	v_accvgpr_write_b32 a60, v226
	;; [unrolled: 1-line block ×3, first 2 shown]
	v_add_f64 v[224:225], v[112:113], -v[246:247]
	v_mul_f64 v[174:175], v[216:217], s[26:27]
	v_fma_f64 v[16:17], v[212:213], s[26:27], -v[170:171]
	s_mov_b32 s28, 0x3259b75e
	s_mov_b32 s37, 0xbfefdd0d
	v_add_f64 v[0:1], v[16:17], v[0:1]
	v_fma_f64 v[16:17], s[30:31], v[224:225], v[174:175]
	s_mov_b32 s29, 0x3fb79ee6
	v_mul_f64 v[180:181], v[220:221], s[36:37]
	v_add_f64 v[10:11], v[100:101], v[10:11]
	v_mul_f64 v[12:13], v[200:201], s[14:15]
	s_mov_b32 s49, 0x3fc7851a
	s_mov_b32 s48, s24
	v_add_f64 v[2:3], v[16:17], v[2:3]
	v_mul_f64 v[188:189], v[216:217], s[28:29]
	v_fma_f64 v[16:17], v[212:213], s[28:29], -v[180:181]
	v_fma_f64 v[14:15], s[48:49], v[206:207], v[12:13]
	v_fmac_f64_e32 v[12:13], s[24:25], v[206:207]
	v_add_f64 v[10:11], v[20:21], v[10:11]
	v_mul_f64 v[20:21], v[208:209], s[26:27]
	v_add_f64 v[4:5], v[16:17], v[4:5]
	v_fma_f64 v[16:17], s[36:37], v[224:225], v[188:189]
	v_add_f64 v[12:13], v[102:103], v[12:13]
	v_fma_f64 v[22:23], s[30:31], v[214:215], v[20:21]
	v_fmac_f64_e32 v[20:21], s[46:47], v[214:215]
	v_add_f64 v[6:7], v[16:17], v[6:7]
	v_mul_f64 v[16:17], v[220:221], s[20:21]
	v_add_f64 v[228:229], v[118:119], -v[38:39]
	v_add_f64 v[12:13], v[20:21], v[12:13]
	v_fma_f64 v[20:21], s[10:11], v[212:213], v[16:17]
	v_fma_f64 v[16:17], v[212:213], s[10:11], -v[16:17]
	v_add_f64 v[218:219], v[116:117], v[36:37]
	v_add_f64 v[222:223], v[118:119], v[38:39]
	v_mul_f64 v[178:179], v[228:229], s[20:21]
	v_add_f64 v[14:15], v[102:103], v[14:15]
	v_add_f64 v[10:11], v[20:21], v[10:11]
	v_mul_f64 v[20:21], v[216:217], s[10:11]
	s_mov_b32 s50, s20
	v_add_f64 v[8:9], v[16:17], v[8:9]
	v_add_f64 v[232:233], v[116:117], -v[36:37]
	v_mul_f64 v[182:183], v[222:223], s[10:11]
	v_fma_f64 v[16:17], v[218:219], s[10:11], -v[178:179]
	s_mov_b32 s59, 0x3fe9895b
	s_mov_b32 s58, s16
	v_add_f64 v[14:15], v[22:23], v[14:15]
	v_fma_f64 v[22:23], s[50:51], v[224:225], v[20:21]
	v_fmac_f64_e32 v[20:21], s[20:21], v[224:225]
	v_add_f64 v[0:1], v[16:17], v[0:1]
	v_fma_f64 v[16:17], s[20:21], v[232:233], v[182:183]
	v_mul_f64 v[184:185], v[228:229], s[58:59]
	v_add_f64 v[12:13], v[20:21], v[12:13]
	v_add_f64 v[16:17], v[16:17], v[2:3]
	v_mul_f64 v[2:3], v[222:223], s[2:3]
	v_fma_f64 v[20:21], v[218:219], s[2:3], -v[184:185]
	s_mov_b32 s56, 0x2a9d6da3
	v_add_f64 v[20:21], v[20:21], v[4:5]
	v_fma_f64 v[4:5], s[58:59], v[232:233], v[2:3]
	s_mov_b32 s57, 0x3fe58eea
	s_mov_b32 s38, 0x75d4884
	v_add_f64 v[6:7], v[4:5], v[6:7]
	v_mul_f64 v[4:5], v[228:229], s[56:57]
	s_mov_b32 s39, 0x3fe7a5f6
	v_add_f64 v[14:15], v[22:23], v[14:15]
	v_fma_f64 v[22:23], s[38:39], v[218:219], v[4:5]
	v_add_f64 v[236:237], v[122:123], -v[42:43]
	s_mov_b32 s61, 0x3fefdd0d
	s_mov_b32 s60, s36
	v_add_f64 v[10:11], v[22:23], v[10:11]
	v_mul_f64 v[22:23], v[222:223], s[38:39]
	s_mov_b32 s45, 0xbfe58eea
	s_mov_b32 s44, s56
	v_fma_f64 v[4:5], v[218:219], s[38:39], -v[4:5]
	v_add_f64 v[226:227], v[40:41], v[120:121]
	v_add_f64 v[230:231], v[42:43], v[122:123]
	v_mov_b64_e32 v[60:61], v[242:243]
	v_mul_f64 v[186:187], v[236:237], s[60:61]
	v_fma_f64 v[24:25], s[44:45], v[232:233], v[22:23]
	v_add_f64 v[8:9], v[4:5], v[8:9]
	v_mov_b64_e32 v[62:63], v[244:245]
	v_add_f64 v[242:243], v[120:121], -v[40:41]
	v_mul_f64 v[190:191], v[230:231], s[28:29]
	v_fma_f64 v[4:5], v[226:227], s[28:29], -v[186:187]
	v_add_f64 v[14:15], v[24:25], v[14:15]
	v_fmac_f64_e32 v[22:23], s[56:57], v[232:233]
	v_add_f64 v[24:25], v[4:5], v[0:1]
	v_fma_f64 v[0:1], s[60:61], v[242:243], v[190:191]
	v_mul_f64 v[4:5], v[236:237], s[30:31]
	v_add_f64 v[12:13], v[22:23], v[12:13]
	v_add_f64 v[16:17], v[0:1], v[16:17]
	v_mul_f64 v[22:23], v[230:231], s[26:27]
	v_fma_f64 v[0:1], v[226:227], s[26:27], -v[4:5]
	v_add_f64 v[20:21], v[0:1], v[20:21]
	v_fma_f64 v[0:1], s[30:31], v[242:243], v[22:23]
	v_add_f64 v[26:27], v[0:1], v[6:7]
	v_mul_f64 v[0:1], v[236:237], s[16:17]
	v_fma_f64 v[6:7], s[2:3], v[226:227], v[0:1]
	v_add_f64 v[28:29], v[6:7], v[10:11]
	v_mul_f64 v[6:7], v[230:231], s[2:3]
	v_fma_f64 v[0:1], v[226:227], s[2:3], -v[0:1]
	v_add_f64 v[244:245], v[126:127], -v[98:99]
	v_fma_f64 v[10:11], s[58:59], v[242:243], v[6:7]
	v_add_f64 v[8:9], v[0:1], v[8:9]
	v_fmac_f64_e32 v[6:7], s[16:17], v[242:243]
	v_add_f64 v[234:235], v[96:97], v[124:125]
	v_add_f64 v[238:239], v[98:99], v[126:127]
	v_mul_f64 v[0:1], v[244:245], s[44:45]
	v_add_f64 v[14:15], v[10:11], v[14:15]
	v_add_f64 v[12:13], v[6:7], v[12:13]
	v_add_f64 v[250:251], v[124:125], -v[96:97]
	v_mul_f64 v[6:7], v[238:239], s[38:39]
	v_fma_f64 v[10:11], v[234:235], s[38:39], -v[0:1]
	v_add_f64 v[24:25], v[10:11], v[24:25]
	v_fma_f64 v[10:11], s[44:45], v[250:251], v[6:7]
	v_add_f64 v[16:17], v[10:11], v[16:17]
	v_mul_f64 v[10:11], v[244:245], s[24:25]
	v_mul_f64 v[30:31], v[238:239], s[14:15]
	v_fma_f64 v[140:141], v[234:235], s[14:15], -v[10:11]
	v_add_f64 v[140:141], v[140:141], v[20:21]
	v_fma_f64 v[20:21], s[24:25], v[250:251], v[30:31]
	v_add_f64 v[142:143], v[20:21], v[26:27]
	v_mul_f64 v[20:21], v[244:245], s[42:43]
	v_fma_f64 v[26:27], s[22:23], v[234:235], v[20:21]
	v_add_f64 v[28:29], v[26:27], v[28:29]
	v_mul_f64 v[26:27], v[238:239], s[22:23]
	s_mov_b32 s53, 0xbfeca52d
	s_mov_b32 s52, s42
	v_fma_f64 v[144:145], s[52:53], v[250:251], v[26:27]
	v_add_f64 v[144:145], v[144:145], v[14:15]
	v_fma_f64 v[14:15], v[234:235], s[22:23], -v[20:21]
	v_mov_b64_e32 v[64:65], v[246:247]
	v_add_f64 v[252:253], v[130:131], -v[94:95]
	v_add_f64 v[146:147], v[14:15], v[8:9]
	v_add_f64 v[240:241], v[128:129], v[92:93]
	v_mov_b64_e32 v[66:67], v[248:249]
	v_add_f64 v[246:247], v[130:131], v[94:95]
	v_mul_f64 v[8:9], v[252:253], s[24:25]
	v_fmac_f64_e32 v[26:27], s[42:43], v[250:251]
	v_add_f64 v[192:193], v[128:129], -v[92:93]
	v_mul_f64 v[20:21], v[246:247], s[14:15]
	v_fma_f64 v[14:15], v[240:241], s[14:15], -v[8:9]
	v_add_f64 v[12:13], v[26:27], v[12:13]
	v_add_f64 v[148:149], v[14:15], v[24:25]
	v_fma_f64 v[14:15], s[24:25], v[192:193], v[20:21]
	v_mul_f64 v[26:27], v[252:253], s[56:57]
	v_add_f64 v[16:17], v[14:15], v[16:17]
	v_mul_f64 v[14:15], v[246:247], s[38:39]
	v_fma_f64 v[24:25], v[240:241], s[38:39], -v[26:27]
	v_add_f64 v[140:141], v[24:25], v[140:141]
	v_fma_f64 v[24:25], s[56:57], v[192:193], v[14:15]
	s_mov_b32 s55, 0xbfeec746
	s_mov_b32 s54, s40
	v_add_f64 v[142:143], v[24:25], v[142:143]
	v_mul_f64 v[24:25], v[252:253], s[54:55]
	v_fma_f64 v[150:151], s[18:19], v[240:241], v[24:25]
	v_add_f64 v[18:19], v[150:151], v[28:29]
	v_mul_f64 v[28:29], v[246:247], s[18:19]
	v_fma_f64 v[24:25], v[240:241], s[18:19], -v[24:25]
	v_add_f64 v[196:197], v[134:135], -v[138:139]
	v_fma_f64 v[150:151], s[40:41], v[192:193], v[28:29]
	v_add_f64 v[146:147], v[24:25], v[146:147]
	v_fmac_f64_e32 v[28:29], s[54:55], v[192:193]
	v_add_f64 v[248:249], v[132:133], v[136:137]
	v_add_f64 v[254:255], v[134:135], v[138:139]
	v_mul_f64 v[24:25], v[196:197], s[42:43]
	v_add_f64 v[32:33], v[28:29], v[12:13]
	v_add_f64 v[156:157], v[132:133], -v[136:137]
	v_mul_f64 v[28:29], v[254:255], s[22:23]
	v_fma_f64 v[12:13], v[248:249], s[22:23], -v[24:25]
	v_add_f64 v[148:149], v[12:13], v[148:149]
	v_fma_f64 v[12:13], s[42:43], v[156:157], v[28:29]
	v_add_f64 v[144:145], v[150:151], v[144:145]
	v_add_f64 v[150:151], v[12:13], v[16:17]
	v_mul_f64 v[12:13], v[196:197], s[54:55]
	v_mul_f64 v[16:17], v[254:255], s[18:19]
	v_fma_f64 v[34:35], v[248:249], s[18:19], -v[12:13]
	v_add_f64 v[152:153], v[34:35], v[140:141]
	v_fma_f64 v[34:35], s[54:55], v[156:157], v[16:17]
	v_add_f64 v[154:155], v[34:35], v[142:143]
	v_mul_f64 v[34:35], v[196:197], s[60:61]
	v_fma_f64 v[140:141], s[28:29], v[248:249], v[34:35]
	v_add_f64 v[140:141], v[140:141], v[18:19]
	v_mul_f64 v[18:19], v[254:255], s[28:29]
	v_fma_f64 v[142:143], s[36:37], v[156:157], v[18:19]
	v_fma_f64 v[34:35], v[248:249], s[28:29], -v[34:35]
	v_fmac_f64_e32 v[18:19], s[60:61], v[156:157]
	v_add_f64 v[142:143], v[142:143], v[144:145]
	v_add_f64 v[144:145], v[34:35], v[146:147]
	;; [unrolled: 1-line block ×3, first 2 shown]
	s_barrier
	s_and_saveexec_b64 s[34:35], vcc
	s_cbranch_execz .LBB0_17
; %bb.16:
	v_accvgpr_write_b32 a65, v39
	v_mul_f64 v[58:59], v[156:157], s[54:55]
	v_accvgpr_write_b32 a64, v38
	v_accvgpr_write_b32 a63, v37
	;; [unrolled: 1-line block ×3, first 2 shown]
	v_mul_f64 v[36:37], v[206:207], s[20:21]
	v_add_f64 v[16:17], v[16:17], -v[58:59]
	v_mul_f64 v[58:59], v[192:193], s[56:57]
	v_accvgpr_write_b32 a5, v44
	v_accvgpr_write_b32 a6, v45
	v_mul_f64 v[44:45], v[214:215], s[42:43]
	v_accvgpr_write_b32 a12, v50
	v_add_f64 v[14:15], v[14:15], -v[58:59]
	v_mul_f64 v[58:59], v[250:251], s[24:25]
	v_add_f64 v[36:37], v[168:169], -v[36:37]
	v_accvgpr_write_b32 a13, v51
	v_accvgpr_write_b32 a14, v52
	;; [unrolled: 1-line block ×3, first 2 shown]
	v_mul_f64 v[52:53], v[224:225], s[36:37]
	v_add_f64 v[30:31], v[30:31], -v[58:59]
	v_mul_f64 v[58:59], v[242:243], s[30:31]
	v_add_f64 v[44:45], v[176:177], -v[44:45]
	v_add_f64 v[36:37], v[102:103], v[36:37]
	v_add_f64 v[22:23], v[22:23], -v[58:59]
	v_mul_f64 v[58:59], v[232:233], s[58:59]
	v_add_f64 v[52:53], v[188:189], -v[52:53]
	v_add_f64 v[36:37], v[44:45], v[36:37]
	v_add_f64 v[2:3], v[2:3], -v[58:59]
	v_add_f64 v[36:37], v[52:53], v[36:37]
	v_add_f64 v[2:3], v[2:3], v[36:37]
	v_mul_f64 v[34:35], v[198:199], s[10:11]
	v_accvgpr_write_b32 a69, v43
	v_add_f64 v[2:3], v[22:23], v[2:3]
	v_accvgpr_write_b32 a68, v42
	v_accvgpr_write_b32 a67, v41
	;; [unrolled: 1-line block ×3, first 2 shown]
	v_mul_f64 v[42:43], v[204:205], s[22:23]
	v_add_f64 v[2:3], v[30:31], v[2:3]
	v_add_f64 v[34:35], v[34:35], v[162:163]
	v_mul_f64 v[50:51], v[212:213], s[28:29]
	v_add_f64 v[2:3], v[14:15], v[2:3]
	v_accvgpr_write_b32 a77, v71
	v_add_f64 v[42:43], v[42:43], v[172:173]
	v_add_f64 v[34:35], v[100:101], v[34:35]
	v_mul_f64 v[58:59], v[218:219], s[2:3]
	v_mul_f64 v[168:169], v[226:227], s[26:27]
	v_accvgpr_write_b32 a76, v70
	v_accvgpr_write_b32 a75, v69
	;; [unrolled: 1-line block ×3, first 2 shown]
	v_add_f64 v[70:71], v[16:17], v[2:3]
	v_add_f64 v[16:17], v[50:51], v[180:181]
	;; [unrolled: 1-line block ×6, first 2 shown]
	v_mul_f64 v[32:33], v[206:207], s[16:17]
	v_mul_f64 v[36:37], v[234:235], s[14:15]
	;; [unrolled: 1-line block ×4, first 2 shown]
	v_add_f64 v[4:5], v[4:5], v[16:17]
	v_mul_f64 v[40:41], v[214:215], s[40:41]
	v_accvgpr_write_b32 a8, v46
	v_add_f64 v[12:13], v[14:15], v[12:13]
	v_mul_f64 v[14:15], v[240:241], s[38:39]
	v_add_f64 v[10:11], v[36:37], v[10:11]
	v_add_f64 v[2:3], v[2:3], v[4:5]
	v_add_f64 v[4:5], v[20:21], -v[30:31]
	v_add_f64 v[20:21], v[160:161], -v[32:33]
	v_accvgpr_write_b32 a9, v47
	v_accvgpr_write_b32 a10, v48
	;; [unrolled: 1-line block ×3, first 2 shown]
	v_mul_f64 v[48:49], v[224:225], s[30:31]
	v_accvgpr_write_b32 a44, v54
	v_add_f64 v[14:15], v[14:15], v[26:27]
	v_add_f64 v[2:3], v[10:11], v[2:3]
	v_add_f64 v[16:17], v[166:167], -v[40:41]
	v_add_f64 v[20:21], v[102:103], v[20:21]
	v_accvgpr_write_b32 a45, v55
	v_accvgpr_write_b32 a46, v56
	;; [unrolled: 1-line block ×3, first 2 shown]
	v_mul_f64 v[56:57], v[232:233], s[20:21]
	v_add_f64 v[2:3], v[14:15], v[2:3]
	v_add_f64 v[14:15], v[174:175], -v[48:49]
	v_add_f64 v[16:17], v[16:17], v[20:21]
	v_mul_f64 v[176:177], v[242:243], s[60:61]
	v_add_f64 v[68:69], v[12:13], v[2:3]
	v_add_f64 v[12:13], v[182:183], -v[56:57]
	v_add_f64 v[14:15], v[14:15], v[16:17]
	v_mul_f64 v[52:53], v[250:251], s[44:45]
	v_add_f64 v[10:11], v[190:191], -v[176:177]
	v_add_f64 v[12:13], v[12:13], v[14:15]
	v_mul_f64 v[18:19], v[198:199], s[2:3]
	;; [unrolled: 3-line block ×3, first 2 shown]
	v_mul_f64 v[36:37], v[156:157], s[42:43]
	v_add_f64 v[6:7], v[6:7], v[10:11]
	v_add_f64 v[14:15], v[18:19], v[158:159]
	v_mul_f64 v[46:47], v[212:213], s[26:27]
	v_mul_f64 v[26:27], v[248:249], s[22:23]
	v_add_f64 v[2:3], v[28:29], -v[36:37]
	v_add_f64 v[4:5], v[4:5], v[6:7]
	v_add_f64 v[12:13], v[38:39], v[164:165]
	;; [unrolled: 1-line block ×3, first 2 shown]
	v_mul_f64 v[28:29], v[206:207], s[54:55]
	v_mul_f64 v[54:55], v[218:219], s[10:11]
	v_mul_f64 v[44:45], v[234:235], s[38:39]
	v_mul_f64 v[22:23], v[240:241], s[14:15]
	v_add_f64 v[166:167], v[2:3], v[4:5]
	v_add_f64 v[2:3], v[26:27], v[24:25]
	;; [unrolled: 1-line block ×4, first 2 shown]
	v_mul_f64 v[24:25], v[214:215], s[50:51]
	v_fma_f64 v[30:31], s[18:19], v[200:201], v[28:29]
	v_mul_f64 v[188:189], v[226:227], s[28:29]
	v_add_f64 v[4:5], v[22:23], v[8:9]
	v_add_f64 v[0:1], v[44:45], v[0:1]
	;; [unrolled: 1-line block ×4, first 2 shown]
	v_mul_f64 v[20:21], v[224:225], s[56:57]
	v_fma_f64 v[26:27], s[10:11], v[208:209], v[24:25]
	v_add_f64 v[30:31], v[102:103], v[30:31]
	v_mul_f64 v[44:45], v[202:203], s[54:55]
	v_add_f64 v[6:7], v[188:189], v[186:187]
	v_add_f64 v[8:9], v[8:9], v[10:11]
	v_mul_f64 v[16:17], v[232:233], s[52:53]
	v_fma_f64 v[22:23], s[38:39], v[216:217], v[20:21]
	v_add_f64 v[26:27], v[26:27], v[30:31]
	v_mul_f64 v[40:41], v[210:211], s[50:51]
	v_fma_f64 v[46:47], v[198:199], s[18:19], -v[44:45]
	v_add_f64 v[6:7], v[6:7], v[8:9]
	v_mul_f64 v[12:13], v[242:243], s[24:25]
	v_fma_f64 v[18:19], s[22:23], v[222:223], v[16:17]
	v_add_f64 v[22:23], v[22:23], v[26:27]
	v_mul_f64 v[36:37], v[220:221], s[56:57]
	v_fma_f64 v[42:43], v[204:205], s[10:11], -v[40:41]
	v_add_f64 v[46:47], v[100:101], v[46:47]
	v_add_f64 v[0:1], v[0:1], v[6:7]
	v_mul_f64 v[8:9], v[250:251], s[60:61]
	v_fma_f64 v[14:15], s[14:15], v[230:231], v[12:13]
	v_add_f64 v[18:19], v[18:19], v[22:23]
	v_mul_f64 v[32:33], v[228:229], s[52:53]
	v_fma_f64 v[38:39], v[212:213], s[38:39], -v[36:37]
	v_add_f64 v[42:43], v[42:43], v[46:47]
	;; [unrolled: 7-line block ×4, first 2 shown]
	v_fma_f64 v[2:3], s[2:3], v[254:255], v[0:1]
	v_add_f64 v[6:7], v[6:7], v[10:11]
	v_mul_f64 v[10:11], v[252:253], s[30:31]
	v_fma_f64 v[22:23], v[234:235], s[28:29], -v[18:19]
	v_add_f64 v[30:31], v[30:31], v[34:35]
	v_add_f64 v[162:163], v[2:3], v[6:7]
	v_mul_f64 v[2:3], v[196:197], s[16:17]
	v_fma_f64 v[14:15], v[240:241], s[26:27], -v[10:11]
	v_add_f64 v[22:23], v[22:23], v[30:31]
	v_fma_f64 v[6:7], v[248:249], s[2:3], -v[2:3]
	v_add_f64 v[14:15], v[14:15], v[22:23]
	v_add_f64 v[160:161], v[6:7], v[14:15]
	v_fma_f64 v[14:15], v[216:217], s[38:39], -v[20:21]
	v_fma_f64 v[20:21], v[200:201], s[18:19], -v[28:29]
	;; [unrolled: 1-line block ×6, first 2 shown]
	v_add_f64 v[20:21], v[102:103], v[20:21]
	v_add_f64 v[16:17], v[16:17], v[20:21]
	;; [unrolled: 1-line block ×5, first 2 shown]
	v_fma_f64 v[4:5], v[246:247], s[26:27], -v[4:5]
	v_add_f64 v[6:7], v[6:7], v[8:9]
	v_fma_f64 v[0:1], v[254:255], s[2:3], -v[0:1]
	v_add_f64 v[4:5], v[4:5], v[6:7]
	v_fmac_f64_e32 v[44:45], s[18:19], v[198:199]
	v_add_f64 v[174:175], v[0:1], v[4:5]
	v_fmac_f64_e32 v[40:41], s[10:11], v[204:205]
	;; [unrolled: 2-line block ×4, first 2 shown]
	v_add_f64 v[0:1], v[36:37], v[0:1]
	v_mul_f64 v[28:29], v[206:207], s[36:37]
	v_fmac_f64_e32 v[26:27], s[14:15], v[226:227]
	v_add_f64 v[0:1], v[32:33], v[0:1]
	v_mul_f64 v[24:25], v[214:215], s[24:25]
	v_fma_f64 v[30:31], s[28:29], v[200:201], v[28:29]
	v_add_f64 v[0:1], v[26:27], v[0:1]
	v_mul_f64 v[20:21], v[224:225], s[40:41]
	v_fma_f64 v[26:27], s[14:15], v[208:209], v[24:25]
	v_add_f64 v[30:31], v[102:103], v[30:31]
	v_mul_f64 v[44:45], v[202:203], s[36:37]
	v_fmac_f64_e32 v[18:19], s[28:29], v[234:235]
	v_mul_f64 v[16:17], v[232:233], s[46:47]
	v_fma_f64 v[22:23], s[18:19], v[216:217], v[20:21]
	v_add_f64 v[26:27], v[26:27], v[30:31]
	v_mul_f64 v[40:41], v[210:211], s[24:25]
	v_fma_f64 v[46:47], v[198:199], s[28:29], -v[44:45]
	v_add_f64 v[0:1], v[18:19], v[0:1]
	v_mul_f64 v[12:13], v[242:243], s[52:53]
	v_fma_f64 v[18:19], s[26:27], v[222:223], v[16:17]
	v_add_f64 v[22:23], v[22:23], v[26:27]
	v_mul_f64 v[36:37], v[220:221], s[40:41]
	v_fma_f64 v[42:43], v[204:205], s[14:15], -v[40:41]
	v_add_f64 v[46:47], v[100:101], v[46:47]
	v_fmac_f64_e32 v[10:11], s[26:27], v[240:241]
	v_mul_f64 v[8:9], v[250:251], s[20:21]
	v_fma_f64 v[14:15], s[22:23], v[230:231], v[12:13]
	v_add_f64 v[18:19], v[18:19], v[22:23]
	v_mul_f64 v[32:33], v[228:229], s[46:47]
	v_fma_f64 v[38:39], v[212:213], s[18:19], -v[36:37]
	v_add_f64 v[42:43], v[42:43], v[46:47]
	v_fmac_f64_e32 v[2:3], s[2:3], v[248:249]
	v_add_f64 v[0:1], v[10:11], v[0:1]
	v_mul_f64 v[4:5], v[192:193], s[58:59]
	v_fma_f64 v[10:11], s[10:11], v[238:239], v[8:9]
	v_add_f64 v[14:15], v[14:15], v[18:19]
	v_mul_f64 v[26:27], v[236:237], s[52:53]
	v_fma_f64 v[34:35], v[218:219], s[26:27], -v[32:33]
	v_add_f64 v[38:39], v[38:39], v[42:43]
	v_add_f64 v[172:173], v[2:3], v[0:1]
	v_mul_f64 v[0:1], v[156:157], s[56:57]
	v_fma_f64 v[6:7], s[2:3], v[246:247], v[4:5]
	v_add_f64 v[10:11], v[10:11], v[14:15]
	v_mul_f64 v[18:19], v[244:245], s[20:21]
	v_fma_f64 v[30:31], v[226:227], s[22:23], -v[26:27]
	v_add_f64 v[34:35], v[34:35], v[38:39]
	v_fma_f64 v[2:3], s[38:39], v[254:255], v[0:1]
	v_add_f64 v[6:7], v[6:7], v[10:11]
	v_mul_f64 v[10:11], v[252:253], s[58:59]
	v_fma_f64 v[22:23], v[234:235], s[10:11], -v[18:19]
	v_add_f64 v[30:31], v[30:31], v[34:35]
	v_add_f64 v[170:171], v[2:3], v[6:7]
	v_mul_f64 v[2:3], v[196:197], s[56:57]
	v_fma_f64 v[14:15], v[240:241], s[2:3], -v[10:11]
	v_add_f64 v[22:23], v[22:23], v[30:31]
	v_fma_f64 v[6:7], v[248:249], s[38:39], -v[2:3]
	v_add_f64 v[14:15], v[14:15], v[22:23]
	v_add_f64 v[168:169], v[6:7], v[14:15]
	v_fma_f64 v[14:15], v[216:217], s[18:19], -v[20:21]
	v_fma_f64 v[20:21], v[200:201], s[28:29], -v[28:29]
	;; [unrolled: 1-line block ×6, first 2 shown]
	v_add_f64 v[20:21], v[102:103], v[20:21]
	v_add_f64 v[16:17], v[16:17], v[20:21]
	;; [unrolled: 1-line block ×5, first 2 shown]
	v_fma_f64 v[4:5], v[246:247], s[2:3], -v[4:5]
	v_add_f64 v[6:7], v[6:7], v[8:9]
	v_fma_f64 v[0:1], v[254:255], s[38:39], -v[0:1]
	v_add_f64 v[4:5], v[4:5], v[6:7]
	v_fmac_f64_e32 v[44:45], s[28:29], v[198:199]
	v_add_f64 v[182:183], v[0:1], v[4:5]
	v_fmac_f64_e32 v[40:41], s[14:15], v[204:205]
	;; [unrolled: 2-line block ×4, first 2 shown]
	v_add_f64 v[0:1], v[36:37], v[0:1]
	v_mul_f64 v[28:29], v[206:207], s[52:53]
	v_fmac_f64_e32 v[26:27], s[22:23], v[226:227]
	v_add_f64 v[0:1], v[32:33], v[0:1]
	v_mul_f64 v[24:25], v[214:215], s[16:17]
	v_fma_f64 v[30:31], s[22:23], v[200:201], v[28:29]
	v_add_f64 v[0:1], v[26:27], v[0:1]
	v_mul_f64 v[20:21], v[224:225], s[48:49]
	v_fma_f64 v[26:27], s[2:3], v[208:209], v[24:25]
	v_add_f64 v[30:31], v[102:103], v[30:31]
	v_mul_f64 v[44:45], v[202:203], s[52:53]
	v_fmac_f64_e32 v[18:19], s[10:11], v[234:235]
	v_mul_f64 v[16:17], v[232:233], s[40:41]
	v_fma_f64 v[22:23], s[14:15], v[216:217], v[20:21]
	v_add_f64 v[26:27], v[26:27], v[30:31]
	v_mul_f64 v[40:41], v[210:211], s[16:17]
	v_fma_f64 v[46:47], v[198:199], s[22:23], -v[44:45]
	v_add_f64 v[0:1], v[18:19], v[0:1]
	v_mul_f64 v[12:13], v[242:243], s[56:57]
	v_fma_f64 v[18:19], s[18:19], v[222:223], v[16:17]
	v_add_f64 v[22:23], v[22:23], v[26:27]
	v_mul_f64 v[36:37], v[220:221], s[48:49]
	v_fma_f64 v[42:43], v[204:205], s[2:3], -v[40:41]
	v_add_f64 v[46:47], v[100:101], v[46:47]
	v_fmac_f64_e32 v[10:11], s[2:3], v[240:241]
	v_mul_f64 v[8:9], v[250:251], s[30:31]
	v_fma_f64 v[14:15], s[38:39], v[230:231], v[12:13]
	v_add_f64 v[18:19], v[18:19], v[22:23]
	v_mul_f64 v[32:33], v[228:229], s[40:41]
	v_fma_f64 v[38:39], v[212:213], s[14:15], -v[36:37]
	v_add_f64 v[42:43], v[42:43], v[46:47]
	v_fmac_f64_e32 v[2:3], s[38:39], v[248:249]
	v_add_f64 v[0:1], v[10:11], v[0:1]
	v_mul_f64 v[4:5], v[192:193], s[36:37]
	v_fma_f64 v[10:11], s[26:27], v[238:239], v[8:9]
	v_add_f64 v[14:15], v[14:15], v[18:19]
	v_mul_f64 v[26:27], v[236:237], s[56:57]
	v_fma_f64 v[34:35], v[218:219], s[18:19], -v[32:33]
	v_add_f64 v[38:39], v[38:39], v[42:43]
	v_add_f64 v[180:181], v[2:3], v[0:1]
	v_mul_f64 v[0:1], v[156:157], s[20:21]
	v_fma_f64 v[6:7], s[28:29], v[246:247], v[4:5]
	v_add_f64 v[10:11], v[10:11], v[14:15]
	v_mul_f64 v[18:19], v[244:245], s[30:31]
	v_fma_f64 v[30:31], v[226:227], s[38:39], -v[26:27]
	v_add_f64 v[34:35], v[34:35], v[38:39]
	v_fma_f64 v[2:3], s[10:11], v[254:255], v[0:1]
	v_add_f64 v[6:7], v[6:7], v[10:11]
	v_mul_f64 v[10:11], v[252:253], s[36:37]
	v_fma_f64 v[22:23], v[234:235], s[26:27], -v[18:19]
	v_add_f64 v[30:31], v[30:31], v[34:35]
	v_add_f64 v[178:179], v[2:3], v[6:7]
	v_mul_f64 v[2:3], v[196:197], s[20:21]
	v_fma_f64 v[14:15], v[240:241], s[28:29], -v[10:11]
	v_add_f64 v[22:23], v[22:23], v[30:31]
	v_fma_f64 v[6:7], v[248:249], s[10:11], -v[2:3]
	v_add_f64 v[14:15], v[14:15], v[22:23]
	v_add_f64 v[176:177], v[6:7], v[14:15]
	v_fma_f64 v[14:15], v[216:217], s[14:15], -v[20:21]
	v_fma_f64 v[20:21], v[200:201], s[22:23], -v[28:29]
	;; [unrolled: 1-line block ×6, first 2 shown]
	v_add_f64 v[20:21], v[102:103], v[20:21]
	v_add_f64 v[16:17], v[16:17], v[20:21]
	;; [unrolled: 1-line block ×5, first 2 shown]
	v_fma_f64 v[4:5], v[246:247], s[28:29], -v[4:5]
	v_add_f64 v[6:7], v[6:7], v[8:9]
	v_fma_f64 v[0:1], v[254:255], s[10:11], -v[0:1]
	v_add_f64 v[4:5], v[4:5], v[6:7]
	v_fmac_f64_e32 v[44:45], s[22:23], v[198:199]
	v_add_f64 v[190:191], v[0:1], v[4:5]
	v_fmac_f64_e32 v[40:41], s[2:3], v[204:205]
	;; [unrolled: 2-line block ×4, first 2 shown]
	v_add_f64 v[0:1], v[36:37], v[0:1]
	v_mul_f64 v[28:29], v[206:207], s[44:45]
	v_fmac_f64_e32 v[26:27], s[38:39], v[226:227]
	v_add_f64 v[0:1], v[32:33], v[0:1]
	v_mul_f64 v[24:25], v[214:215], s[36:37]
	v_fma_f64 v[30:31], s[38:39], v[200:201], v[28:29]
	v_add_f64 v[0:1], v[26:27], v[0:1]
	v_mul_f64 v[20:21], v[224:225], s[16:17]
	v_fma_f64 v[26:27], s[28:29], v[208:209], v[24:25]
	v_add_f64 v[30:31], v[102:103], v[30:31]
	v_mul_f64 v[44:45], v[202:203], s[44:45]
	v_fmac_f64_e32 v[18:19], s[26:27], v[234:235]
	v_mul_f64 v[16:17], v[232:233], s[24:25]
	v_fma_f64 v[22:23], s[2:3], v[216:217], v[20:21]
	v_add_f64 v[26:27], v[26:27], v[30:31]
	v_mul_f64 v[40:41], v[210:211], s[36:37]
	v_fma_f64 v[46:47], v[198:199], s[38:39], -v[44:45]
	v_add_f64 v[0:1], v[18:19], v[0:1]
	v_mul_f64 v[12:13], v[242:243], s[50:51]
	v_fma_f64 v[18:19], s[14:15], v[222:223], v[16:17]
	v_add_f64 v[22:23], v[22:23], v[26:27]
	v_mul_f64 v[36:37], v[220:221], s[16:17]
	v_fma_f64 v[42:43], v[204:205], s[28:29], -v[40:41]
	v_add_f64 v[46:47], v[100:101], v[46:47]
	v_fmac_f64_e32 v[10:11], s[28:29], v[240:241]
	v_mul_f64 v[8:9], v[250:251], s[40:41]
	v_fma_f64 v[14:15], s[10:11], v[230:231], v[12:13]
	v_add_f64 v[18:19], v[18:19], v[22:23]
	v_mul_f64 v[32:33], v[228:229], s[24:25]
	v_fma_f64 v[38:39], v[212:213], s[2:3], -v[36:37]
	v_add_f64 v[42:43], v[42:43], v[46:47]
	v_fmac_f64_e32 v[2:3], s[10:11], v[248:249]
	v_add_f64 v[0:1], v[10:11], v[0:1]
	v_mul_f64 v[4:5], v[192:193], s[42:43]
	v_fma_f64 v[10:11], s[18:19], v[238:239], v[8:9]
	v_add_f64 v[14:15], v[14:15], v[18:19]
	v_mul_f64 v[26:27], v[236:237], s[50:51]
	v_fma_f64 v[34:35], v[218:219], s[14:15], -v[32:33]
	v_add_f64 v[38:39], v[38:39], v[42:43]
	v_add_f64 v[188:189], v[2:3], v[0:1]
	v_mul_f64 v[0:1], v[156:157], s[46:47]
	v_fma_f64 v[6:7], s[22:23], v[246:247], v[4:5]
	v_add_f64 v[10:11], v[10:11], v[14:15]
	v_mul_f64 v[18:19], v[244:245], s[40:41]
	v_fma_f64 v[30:31], v[226:227], s[10:11], -v[26:27]
	v_add_f64 v[34:35], v[34:35], v[38:39]
	v_fma_f64 v[2:3], s[26:27], v[254:255], v[0:1]
	v_add_f64 v[6:7], v[6:7], v[10:11]
	v_mul_f64 v[10:11], v[252:253], s[42:43]
	v_fma_f64 v[22:23], v[234:235], s[18:19], -v[18:19]
	v_add_f64 v[30:31], v[30:31], v[34:35]
	v_add_f64 v[186:187], v[2:3], v[6:7]
	v_mul_f64 v[6:7], v[196:197], s[46:47]
	v_fma_f64 v[14:15], v[240:241], s[22:23], -v[10:11]
	v_add_f64 v[22:23], v[22:23], v[30:31]
	v_fma_f64 v[2:3], v[248:249], s[26:27], -v[6:7]
	v_add_f64 v[14:15], v[14:15], v[22:23]
	v_add_f64 v[184:185], v[2:3], v[14:15]
	v_fma_f64 v[14:15], v[216:217], s[2:3], -v[20:21]
	v_fma_f64 v[20:21], v[200:201], s[38:39], -v[28:29]
	;; [unrolled: 1-line block ×7, first 2 shown]
	v_add_f64 v[20:21], v[102:103], v[20:21]
	v_add_f64 v[16:17], v[16:17], v[20:21]
	;; [unrolled: 1-line block ×6, first 2 shown]
	v_fma_f64 v[0:1], v[254:255], s[26:27], -v[0:1]
	v_add_f64 v[2:3], v[2:3], v[4:5]
	v_fmac_f64_e32 v[44:45], s[38:39], v[198:199]
	v_add_f64 v[2:3], v[0:1], v[2:3]
	v_fmac_f64_e32 v[40:41], s[28:29], v[204:205]
	v_add_f64 v[0:1], v[100:101], v[44:45]
	v_fmac_f64_e32 v[36:37], s[2:3], v[212:213]
	v_add_f64 v[0:1], v[40:41], v[0:1]
	v_fmac_f64_e32 v[32:33], s[14:15], v[218:219]
	v_add_f64 v[0:1], v[36:37], v[0:1]
	v_add_f64 v[0:1], v[32:33], v[0:1]
	v_mul_f64 v[32:33], v[206:207], s[30:31]
	v_mul_f64 v[28:29], v[214:215], s[44:45]
	v_fma_f64 v[34:35], s[26:27], v[200:201], v[32:33]
	v_mul_f64 v[50:51], v[202:203], s[30:31]
	v_fmac_f64_e32 v[26:27], s[10:11], v[226:227]
	v_mul_f64 v[24:25], v[224:225], s[52:53]
	v_fma_f64 v[30:31], s[38:39], v[208:209], v[28:29]
	v_add_f64 v[34:35], v[102:103], v[34:35]
	v_mul_f64 v[46:47], v[210:211], s[44:45]
	v_fma_f64 v[52:53], v[198:199], s[26:27], -v[50:51]
	v_add_f64 v[0:1], v[26:27], v[0:1]
	v_mul_f64 v[20:21], v[232:233], s[36:37]
	v_fma_f64 v[26:27], s[22:23], v[216:217], v[24:25]
	v_add_f64 v[30:31], v[30:31], v[34:35]
	v_mul_f64 v[42:43], v[220:221], s[52:53]
	v_fma_f64 v[48:49], v[204:205], s[38:39], -v[46:47]
	v_add_f64 v[52:53], v[100:101], v[52:53]
	v_fmac_f64_e32 v[18:19], s[18:19], v[234:235]
	v_mul_f64 v[16:17], v[242:243], s[54:55]
	v_fma_f64 v[22:23], s[28:29], v[222:223], v[20:21]
	v_add_f64 v[26:27], v[26:27], v[30:31]
	v_mul_f64 v[38:39], v[228:229], s[36:37]
	v_fma_f64 v[44:45], v[212:213], s[22:23], -v[42:43]
	v_add_f64 v[48:49], v[48:49], v[52:53]
	v_fmac_f64_e32 v[10:11], s[22:23], v[240:241]
	v_add_f64 v[0:1], v[18:19], v[0:1]
	v_mul_f64 v[12:13], v[250:251], s[16:17]
	v_fma_f64 v[18:19], s[18:19], v[230:231], v[16:17]
	v_add_f64 v[22:23], v[22:23], v[26:27]
	v_mul_f64 v[34:35], v[236:237], s[54:55]
	v_fma_f64 v[40:41], v[218:219], s[28:29], -v[38:39]
	v_add_f64 v[44:45], v[44:45], v[48:49]
	v_fmac_f64_e32 v[6:7], s[26:27], v[248:249]
	v_add_f64 v[0:1], v[10:11], v[0:1]
	v_mul_f64 v[10:11], v[192:193], s[20:21]
	v_fma_f64 v[14:15], s[2:3], v[238:239], v[12:13]
	v_add_f64 v[18:19], v[18:19], v[22:23]
	v_mul_f64 v[26:27], v[244:245], s[16:17]
	v_fma_f64 v[36:37], v[226:227], s[18:19], -v[34:35]
	v_add_f64 v[40:41], v[40:41], v[44:45]
	v_add_f64 v[0:1], v[6:7], v[0:1]
	v_mul_f64 v[8:9], v[156:157], s[24:25]
	v_fma_f64 v[6:7], s[10:11], v[246:247], v[10:11]
	v_add_f64 v[14:15], v[14:15], v[18:19]
	v_mul_f64 v[18:19], v[252:253], s[20:21]
	v_fma_f64 v[30:31], v[234:235], s[2:3], -v[26:27]
	v_add_f64 v[36:37], v[36:37], v[40:41]
	v_fma_f64 v[4:5], s[14:15], v[254:255], v[8:9]
	v_add_f64 v[6:7], v[6:7], v[14:15]
	v_mul_f64 v[14:15], v[196:197], s[24:25]
	v_fma_f64 v[22:23], v[240:241], s[10:11], -v[18:19]
	v_add_f64 v[30:31], v[30:31], v[36:37]
	v_add_f64 v[6:7], v[4:5], v[6:7]
	v_fma_f64 v[4:5], v[248:249], s[14:15], -v[14:15]
	v_add_f64 v[22:23], v[22:23], v[30:31]
	v_add_f64 v[4:5], v[4:5], v[22:23]
	v_fma_f64 v[22:23], v[216:217], s[22:23], -v[24:25]
	v_fma_f64 v[24:25], v[208:209], s[38:39], -v[28:29]
	;; [unrolled: 1-line block ×3, first 2 shown]
	v_add_f64 v[28:29], v[102:103], v[28:29]
	v_add_f64 v[24:25], v[24:25], v[28:29]
	v_fma_f64 v[20:21], v[222:223], s[28:29], -v[20:21]
	v_add_f64 v[22:23], v[22:23], v[24:25]
	v_fma_f64 v[16:17], v[230:231], s[18:19], -v[16:17]
	;; [unrolled: 2-line block ×4, first 2 shown]
	v_add_f64 v[12:13], v[12:13], v[16:17]
	v_add_f64 v[10:11], v[10:11], v[12:13]
	;; [unrolled: 1-line block ×5, first 2 shown]
	v_fma_f64 v[8:9], v[254:255], s[14:15], -v[8:9]
	v_fmac_f64_e32 v[50:51], s[26:27], v[198:199]
	v_add_f64 v[12:13], v[118:119], v[12:13]
	v_add_f64 v[10:11], v[8:9], v[10:11]
	v_fmac_f64_e32 v[46:47], s[38:39], v[204:205]
	v_add_f64 v[8:9], v[100:101], v[50:51]
	v_add_f64 v[12:13], v[122:123], v[12:13]
	;; [unrolled: 3-line block ×6, first 2 shown]
	v_add_f64 v[8:9], v[26:27], v[8:9]
	v_add_f64 v[12:13], v[94:95], v[12:13]
	v_accvgpr_read_b32 v24, a66
	v_add_f64 v[12:13], v[98:99], v[12:13]
	v_accvgpr_read_b32 v26, a68
	v_accvgpr_read_b32 v27, a69
	;; [unrolled: 1-line block ×3, first 2 shown]
	v_add_f64 v[12:13], v[26:27], v[12:13]
	v_accvgpr_read_b32 v22, a64
	v_accvgpr_read_b32 v23, a65
	v_fmac_f64_e32 v[18:19], s[10:11], v[240:241]
	v_add_f64 v[12:13], v[22:23], v[12:13]
	v_add_f64 v[8:9], v[18:19], v[8:9]
	;; [unrolled: 1-line block ×3, first 2 shown]
	v_accvgpr_read_b32 v16, a58
	v_fmac_f64_e32 v[14:15], s[14:15], v[248:249]
	v_add_f64 v[12:13], v[62:63], v[12:13]
	v_accvgpr_read_b32 v18, a60
	v_accvgpr_read_b32 v19, a61
	v_add_f64 v[8:9], v[14:15], v[8:9]
	v_add_f64 v[14:15], v[18:19], v[12:13]
	;; [unrolled: 1-line block ×12, first 2 shown]
	v_accvgpr_read_b32 v25, a67
	v_add_f64 v[12:13], v[96:97], v[12:13]
	v_accvgpr_read_b32 v21, a63
	v_add_f64 v[12:13], v[24:25], v[12:13]
	v_add_f64 v[12:13], v[20:21], v[12:13]
	;; [unrolled: 1-line block ×3, first 2 shown]
	v_accvgpr_write_b32 a73, v71
	v_accvgpr_read_b32 v17, a59
	v_add_f64 v[12:13], v[60:61], v[12:13]
	v_accvgpr_write_b32 a72, v70
	v_accvgpr_write_b32 a71, v69
	;; [unrolled: 1-line block ×3, first 2 shown]
	v_accvgpr_read_b32 v68, a74
	v_accvgpr_read_b32 v57, a47
	;; [unrolled: 1-line block ×4, first 2 shown]
	v_add_f64 v[12:13], v[16:17], v[12:13]
	v_accvgpr_read_b32 v16, a1
	v_accvgpr_read_b32 v17, a3
	;; [unrolled: 1-line block ×16, first 2 shown]
	v_lshl_add_u32 v16, v17, 4, v16
	ds_write_b128 v16, v[12:15]
	ds_write_b128 v16, v[8:11] offset:16
	ds_write_b128 v16, v[0:3] offset:32
	;; [unrolled: 1-line block ×16, first 2 shown]
.LBB0_17:
	s_or_b64 exec, exec, s[34:35]
	s_waitcnt lgkmcnt(0)
	s_barrier
	ds_read_b128 v[4:7], v195
	ds_read_b128 v[0:3], v195 offset:1088
	ds_read_b128 v[100:103], v195 offset:2720
	;; [unrolled: 1-line block ×7, first 2 shown]
	s_and_saveexec_b64 s[2:3], s[0:1]
	s_cbranch_execz .LBB0_19
; %bb.18:
	ds_read_b128 v[140:143], v195 offset:2176
	ds_read_b128 v[144:147], v195 offset:4896
	;; [unrolled: 1-line block ×4, first 2 shown]
.LBB0_19:
	s_or_b64 exec, exec, s[2:3]
	v_accvgpr_read_b32 v24, a24
	v_accvgpr_read_b32 v26, a26
	;; [unrolled: 1-line block ×5, first 2 shown]
	s_waitcnt lgkmcnt(5)
	v_mul_f64 v[20:21], v[26:27], v[102:103]
	v_mul_f64 v[22:23], v[26:27], v[100:101]
	v_accvgpr_read_b32 v30, a22
	v_accvgpr_read_b32 v32, a36
	v_fmac_f64_e32 v[20:21], v[24:25], v[100:101]
	v_fma_f64 v[22:23], v[24:25], v[102:103], -v[22:23]
	v_accvgpr_read_b32 v29, a21
	v_accvgpr_read_b32 v28, a20
	s_waitcnt lgkmcnt(3)
	v_mul_f64 v[24:25], v[30:31], v[98:99]
	v_mul_f64 v[26:27], v[30:31], v[96:97]
	v_accvgpr_read_b32 v34, a38
	v_accvgpr_read_b32 v35, a39
	v_fmac_f64_e32 v[24:25], v[28:29], v[96:97]
	v_fma_f64 v[26:27], v[28:29], v[98:99], -v[26:27]
	s_waitcnt lgkmcnt(1)
	v_mul_f64 v[28:29], v[34:35], v[94:95]
	v_mul_f64 v[30:31], v[34:35], v[92:93]
	v_accvgpr_read_b32 v34, a40
	v_accvgpr_read_b32 v33, a37
	;; [unrolled: 1-line block ×4, first 2 shown]
	v_fmac_f64_e32 v[28:29], v[32:33], v[92:93]
	v_fma_f64 v[30:31], v[32:33], v[94:95], -v[30:31]
	v_accvgpr_read_b32 v35, a41
	v_mul_f64 v[32:33], v[36:37], v[18:19]
	v_fmac_f64_e32 v[32:33], v[34:35], v[16:17]
	v_mul_f64 v[16:17], v[36:37], v[16:17]
	v_fma_f64 v[34:35], v[34:35], v[18:19], -v[16:17]
	v_accvgpr_read_b32 v16, a32
	v_accvgpr_read_b32 v18, a34
	v_accvgpr_read_b32 v19, a35
	v_accvgpr_read_b32 v17, a33
	v_mul_f64 v[36:37], v[18:19], v[14:15]
	v_fmac_f64_e32 v[36:37], v[16:17], v[12:13]
	v_mul_f64 v[12:13], v[18:19], v[12:13]
	v_fma_f64 v[38:39], v[16:17], v[14:15], -v[12:13]
	v_accvgpr_read_b32 v12, a28
	v_accvgpr_read_b32 v14, a30
	;; [unrolled: 1-line block ×4, first 2 shown]
	s_waitcnt lgkmcnt(0)
	v_mul_f64 v[40:41], v[14:15], v[10:11]
	v_fmac_f64_e32 v[40:41], v[12:13], v[8:9]
	v_mul_f64 v[8:9], v[14:15], v[8:9]
	v_fma_f64 v[42:43], v[12:13], v[10:11], -v[8:9]
	v_add_f64 v[16:17], v[4:5], -v[24:25]
	v_add_f64 v[18:19], v[6:7], -v[26:27]
	;; [unrolled: 1-line block ×4, first 2 shown]
	v_fma_f64 v[8:9], v[4:5], 2.0, -v[16:17]
	v_fma_f64 v[10:11], v[6:7], 2.0, -v[18:19]
	;; [unrolled: 1-line block ×4, first 2 shown]
	v_add_f64 v[28:29], v[0:1], -v[36:37]
	v_add_f64 v[30:31], v[2:3], -v[38:39]
	;; [unrolled: 1-line block ×6, first 2 shown]
	v_fma_f64 v[20:21], v[0:1], 2.0, -v[28:29]
	v_fma_f64 v[22:23], v[2:3], 2.0, -v[30:31]
	;; [unrolled: 1-line block ×6, first 2 shown]
	v_add_f64 v[12:13], v[16:17], v[12:13]
	v_add_f64 v[14:15], v[18:19], -v[14:15]
	v_add_f64 v[0:1], v[20:21], -v[0:1]
	;; [unrolled: 1-line block ×3, first 2 shown]
	v_accvgpr_read_b32 v32, a48
	v_fma_f64 v[16:17], v[16:17], 2.0, -v[12:13]
	v_fma_f64 v[18:19], v[18:19], 2.0, -v[14:15]
	;; [unrolled: 1-line block ×4, first 2 shown]
	v_add_f64 v[24:25], v[28:29], v[24:25]
	v_add_f64 v[26:27], v[30:31], -v[26:27]
	s_barrier
	ds_write_b128 v32, v[8:11]
	ds_write_b128 v32, v[16:19] offset:272
	ds_write_b128 v32, v[4:7] offset:544
	;; [unrolled: 1-line block ×3, first 2 shown]
	v_accvgpr_read_b32 v4, a49
	v_fma_f64 v[28:29], v[28:29], 2.0, -v[24:25]
	v_fma_f64 v[30:31], v[30:31], 2.0, -v[26:27]
	ds_write_b128 v4, v[20:23]
	ds_write_b128 v4, v[28:31] offset:272
	ds_write_b128 v4, v[0:3] offset:544
	;; [unrolled: 1-line block ×3, first 2 shown]
	s_and_saveexec_b64 s[2:3], s[0:1]
	s_cbranch_execz .LBB0_21
; %bb.20:
	v_accvgpr_read_b32 v21, a19
	v_accvgpr_read_b32 v20, a18
	v_accvgpr_read_b32 v19, a17
	v_accvgpr_read_b32 v18, a16
	v_mul_f64 v[0:1], v[20:21], v[152:153]
	v_fma_f64 v[0:1], v[18:19], v[154:155], -v[0:1]
	v_add_f64 v[8:9], v[142:143], -v[0:1]
	v_mul_f64 v[12:13], v[52:53], v[146:147]
	v_mul_f64 v[0:1], v[48:49], v[150:151]
	v_fmac_f64_e32 v[12:13], v[50:51], v[144:145]
	v_fmac_f64_e32 v[0:1], v[46:47], v[148:149]
	v_add_f64 v[16:17], v[12:13], -v[0:1]
	v_mul_f64 v[0:1], v[20:21], v[154:155]
	v_fmac_f64_e32 v[0:1], v[18:19], v[152:153]
	v_add_f64 v[18:19], v[140:141], -v[0:1]
	v_mul_f64 v[0:1], v[52:53], v[144:145]
	v_fma_f64 v[10:11], v[50:51], v[146:147], -v[0:1]
	v_mul_f64 v[0:1], v[48:49], v[148:149]
	v_fma_f64 v[0:1], v[46:47], v[150:151], -v[0:1]
	v_add_f64 v[2:3], v[8:9], -v[16:17]
	v_add_f64 v[14:15], v[10:11], -v[0:1]
	v_fma_f64 v[6:7], v[8:9], 2.0, -v[2:3]
	v_fma_f64 v[8:9], v[142:143], 2.0, -v[8:9]
	v_fma_f64 v[10:11], v[10:11], 2.0, -v[14:15]
	v_add_f64 v[0:1], v[18:19], v[14:15]
	v_add_f64 v[10:11], v[8:9], -v[10:11]
	v_fma_f64 v[4:5], v[18:19], 2.0, -v[0:1]
	v_fma_f64 v[14:15], v[8:9], 2.0, -v[10:11]
	;; [unrolled: 1-line block ×4, first 2 shown]
	v_mul_u32_u24_e32 v16, 0x44, v44
	v_add_f64 v[8:9], v[18:19], -v[8:9]
	v_add_u32_e32 v16, v16, v45
	v_accvgpr_read_b32 v17, a1
	v_fma_f64 v[12:13], v[18:19], 2.0, -v[8:9]
	v_lshl_add_u32 v16, v16, 4, v17
	ds_write_b128 v16, v[12:15]
	ds_write_b128 v16, v[4:7] offset:272
	ds_write_b128 v16, v[8:11] offset:544
	;; [unrolled: 1-line block ×3, first 2 shown]
.LBB0_21:
	s_or_b64 exec, exec, s[2:3]
	s_waitcnt lgkmcnt(0)
	s_barrier
	ds_read_b128 v[0:3], v195
	ds_read_b128 v[6:9], v195 offset:1088
	ds_read_b128 v[10:13], v195 offset:2176
	;; [unrolled: 1-line block ×9, first 2 shown]
	s_waitcnt lgkmcnt(8)
	v_mul_f64 v[4:5], v[70:71], v[8:9]
	v_accvgpr_read_b32 v42, a54
	v_fmac_f64_e32 v[4:5], v[68:69], v[6:7]
	v_mul_f64 v[6:7], v[70:71], v[6:7]
	v_accvgpr_read_b32 v44, a56
	v_accvgpr_read_b32 v45, a57
	v_fma_f64 v[6:7], v[68:69], v[8:9], -v[6:7]
	v_accvgpr_read_b32 v43, a55
	s_waitcnt lgkmcnt(7)
	v_mul_f64 v[8:9], v[44:45], v[12:13]
	v_fmac_f64_e32 v[8:9], v[42:43], v[10:11]
	v_mul_f64 v[10:11], v[44:45], v[10:11]
	v_fma_f64 v[10:11], v[42:43], v[12:13], -v[10:11]
	v_accvgpr_read_b32 v42, a50
	v_accvgpr_read_b32 v44, a52
	;; [unrolled: 1-line block ×4, first 2 shown]
	s_waitcnt lgkmcnt(6)
	v_mul_f64 v[12:13], v[44:45], v[16:17]
	v_fmac_f64_e32 v[12:13], v[42:43], v[14:15]
	v_mul_f64 v[14:15], v[44:45], v[14:15]
	v_fma_f64 v[14:15], v[42:43], v[16:17], -v[14:15]
	s_waitcnt lgkmcnt(5)
	v_mul_f64 v[16:17], v[56:57], v[20:21]
	v_fmac_f64_e32 v[16:17], v[54:55], v[18:19]
	v_mul_f64 v[18:19], v[56:57], v[18:19]
	v_fma_f64 v[18:19], v[54:55], v[20:21], -v[18:19]
	;; [unrolled: 5-line block ×6, first 2 shown]
	v_add_f64 v[42:43], v[16:17], v[24:25]
	s_mov_b32 s16, 0x134454ff
	v_fma_f64 v[42:43], -0.5, v[42:43], v[0:1]
	v_add_f64 v[44:45], v[10:11], -v[34:35]
	s_mov_b32 s17, 0xbfee6f0e
	s_mov_b32 s14, 0x4755a5e
	;; [unrolled: 1-line block ×4, first 2 shown]
	v_fma_f64 v[46:47], s[16:17], v[44:45], v[42:43]
	v_add_f64 v[48:49], v[18:19], -v[26:27]
	s_mov_b32 s15, 0xbfe2cf23
	v_add_f64 v[50:51], v[8:9], -v[16:17]
	v_add_f64 v[52:53], v[32:33], -v[24:25]
	s_mov_b32 s10, 0x372fe950
	v_fmac_f64_e32 v[42:43], s[2:3], v[44:45]
	s_mov_b32 s1, 0x3fe2cf23
	s_mov_b32 s0, s14
	s_waitcnt lgkmcnt(0)
	v_mul_f64 v[36:37], v[90:91], v[40:41]
	v_fmac_f64_e32 v[46:47], s[14:15], v[48:49]
	v_add_f64 v[50:51], v[50:51], v[52:53]
	s_mov_b32 s11, 0x3fd3c6ef
	v_fmac_f64_e32 v[42:43], s[0:1], v[48:49]
	v_fmac_f64_e32 v[36:37], v[88:89], v[38:39]
	v_mul_f64 v[38:39], v[90:91], v[38:39]
	v_fmac_f64_e32 v[46:47], s[10:11], v[50:51]
	v_fmac_f64_e32 v[42:43], s[10:11], v[50:51]
	v_add_f64 v[50:51], v[8:9], v[32:33]
	v_fma_f64 v[38:39], v[88:89], v[40:41], -v[38:39]
	v_add_f64 v[40:41], v[0:1], v[8:9]
	v_fmac_f64_e32 v[0:1], -0.5, v[50:51]
	v_add_f64 v[40:41], v[40:41], v[16:17]
	v_fma_f64 v[50:51], s[2:3], v[48:49], v[0:1]
	v_add_f64 v[52:53], v[16:17], -v[8:9]
	v_add_f64 v[54:55], v[24:25], -v[32:33]
	v_fmac_f64_e32 v[0:1], s[16:17], v[48:49]
	v_add_f64 v[48:49], v[18:19], v[26:27]
	v_add_f64 v[40:41], v[40:41], v[24:25]
	v_fmac_f64_e32 v[50:51], s[14:15], v[44:45]
	v_add_f64 v[52:53], v[52:53], v[54:55]
	v_fmac_f64_e32 v[0:1], s[0:1], v[44:45]
	v_fma_f64 v[48:49], -0.5, v[48:49], v[2:3]
	v_add_f64 v[8:9], v[8:9], -v[32:33]
	v_add_f64 v[40:41], v[40:41], v[32:33]
	v_fmac_f64_e32 v[50:51], s[10:11], v[52:53]
	v_fmac_f64_e32 v[0:1], s[10:11], v[52:53]
	v_fma_f64 v[52:53], s[2:3], v[8:9], v[48:49]
	v_add_f64 v[16:17], v[16:17], -v[24:25]
	v_add_f64 v[24:25], v[10:11], -v[18:19]
	v_add_f64 v[32:33], v[34:35], -v[26:27]
	v_fmac_f64_e32 v[48:49], s[16:17], v[8:9]
	v_fmac_f64_e32 v[52:53], s[0:1], v[16:17]
	v_add_f64 v[24:25], v[24:25], v[32:33]
	v_fmac_f64_e32 v[48:49], s[14:15], v[16:17]
	v_fmac_f64_e32 v[52:53], s[10:11], v[24:25]
	;; [unrolled: 1-line block ×3, first 2 shown]
	v_add_f64 v[24:25], v[10:11], v[34:35]
	v_add_f64 v[44:45], v[2:3], v[10:11]
	v_fmac_f64_e32 v[2:3], -0.5, v[24:25]
	v_fma_f64 v[54:55], s[16:17], v[16:17], v[2:3]
	v_fmac_f64_e32 v[2:3], s[2:3], v[16:17]
	v_fmac_f64_e32 v[54:55], s[0:1], v[8:9]
	;; [unrolled: 1-line block ×3, first 2 shown]
	v_add_f64 v[8:9], v[4:5], v[12:13]
	v_add_f64 v[8:9], v[8:9], v[20:21]
	;; [unrolled: 1-line block ×4, first 2 shown]
	v_add_f64 v[10:11], v[18:19], -v[10:11]
	v_add_f64 v[18:19], v[26:27], -v[34:35]
	v_add_f64 v[32:33], v[8:9], v[36:37]
	v_add_f64 v[8:9], v[20:21], v[28:29]
	;; [unrolled: 1-line block ×4, first 2 shown]
	v_fma_f64 v[26:27], -0.5, v[8:9], v[4:5]
	v_add_f64 v[8:9], v[14:15], -v[38:39]
	v_fmac_f64_e32 v[54:55], s[10:11], v[10:11]
	v_fmac_f64_e32 v[2:3], s[10:11], v[10:11]
	v_fma_f64 v[18:19], s[16:17], v[8:9], v[26:27]
	v_add_f64 v[10:11], v[22:23], -v[30:31]
	v_add_f64 v[16:17], v[12:13], -v[20:21]
	;; [unrolled: 1-line block ×3, first 2 shown]
	v_fmac_f64_e32 v[26:27], s[2:3], v[8:9]
	v_fmac_f64_e32 v[18:19], s[14:15], v[10:11]
	v_add_f64 v[16:17], v[16:17], v[24:25]
	v_fmac_f64_e32 v[26:27], s[0:1], v[10:11]
	v_fmac_f64_e32 v[18:19], s[10:11], v[16:17]
	;; [unrolled: 1-line block ×3, first 2 shown]
	v_add_f64 v[16:17], v[12:13], v[36:37]
	v_fmac_f64_e32 v[4:5], -0.5, v[16:17]
	v_add_f64 v[44:45], v[44:45], v[34:35]
	v_fma_f64 v[34:35], s[2:3], v[10:11], v[4:5]
	v_fmac_f64_e32 v[4:5], s[16:17], v[10:11]
	v_fmac_f64_e32 v[34:35], s[14:15], v[8:9]
	;; [unrolled: 1-line block ×3, first 2 shown]
	v_add_f64 v[8:9], v[6:7], v[14:15]
	v_add_f64 v[8:9], v[8:9], v[22:23]
	;; [unrolled: 1-line block ×3, first 2 shown]
	v_add_f64 v[16:17], v[20:21], -v[12:13]
	v_add_f64 v[24:25], v[28:29], -v[36:37]
	v_add_f64 v[56:57], v[8:9], v[38:39]
	v_add_f64 v[8:9], v[22:23], v[30:31]
	v_add_f64 v[16:17], v[16:17], v[24:25]
	v_fma_f64 v[58:59], -0.5, v[8:9], v[6:7]
	v_add_f64 v[8:9], v[12:13], -v[36:37]
	v_fmac_f64_e32 v[34:35], s[10:11], v[16:17]
	v_fmac_f64_e32 v[4:5], s[10:11], v[16:17]
	v_fma_f64 v[36:37], s[2:3], v[8:9], v[58:59]
	v_add_f64 v[10:11], v[20:21], -v[28:29]
	v_add_f64 v[12:13], v[14:15], -v[22:23]
	;; [unrolled: 1-line block ×3, first 2 shown]
	v_fmac_f64_e32 v[58:59], s[16:17], v[8:9]
	v_fmac_f64_e32 v[36:37], s[0:1], v[10:11]
	v_add_f64 v[12:13], v[12:13], v[16:17]
	v_fmac_f64_e32 v[58:59], s[14:15], v[10:11]
	v_fmac_f64_e32 v[36:37], s[10:11], v[12:13]
	;; [unrolled: 1-line block ×3, first 2 shown]
	v_add_f64 v[12:13], v[14:15], v[38:39]
	v_fmac_f64_e32 v[6:7], -0.5, v[12:13]
	v_fma_f64 v[28:29], s[16:17], v[10:11], v[6:7]
	v_add_f64 v[12:13], v[22:23], -v[14:15]
	v_add_f64 v[14:15], v[30:31], -v[38:39]
	v_fmac_f64_e32 v[6:7], s[2:3], v[10:11]
	v_fmac_f64_e32 v[28:29], s[0:1], v[8:9]
	v_add_f64 v[12:13], v[12:13], v[14:15]
	v_fmac_f64_e32 v[6:7], s[14:15], v[8:9]
	v_fmac_f64_e32 v[28:29], s[10:11], v[12:13]
	;; [unrolled: 1-line block ×3, first 2 shown]
	s_mov_b32 s18, 0x9b97f4a8
	v_mul_f64 v[30:31], v[36:37], s[14:15]
	s_mov_b32 s19, 0x3fe9e377
	v_mul_f64 v[38:39], v[28:29], s[16:17]
	v_mul_f64 v[60:61], v[6:7], s[16:17]
	s_mov_b32 s17, 0xbfd3c6ef
	s_mov_b32 s16, s10
	v_mul_f64 v[62:63], v[58:59], s[14:15]
	s_mov_b32 s15, 0xbfe9e377
	s_mov_b32 s14, s18
	v_fmac_f64_e32 v[62:63], s[14:15], v[26:27]
	v_mul_f64 v[64:65], v[36:37], s[18:19]
	v_mul_f64 v[66:67], v[28:29], s[10:11]
	;; [unrolled: 1-line block ×4, first 2 shown]
	v_add_f64 v[8:9], v[40:41], v[32:33]
	v_fmac_f64_e32 v[30:31], s[18:19], v[18:19]
	v_fmac_f64_e32 v[38:39], s[10:11], v[34:35]
	;; [unrolled: 1-line block ×3, first 2 shown]
	v_add_f64 v[24:25], v[42:43], v[62:63]
	v_add_f64 v[10:11], v[44:45], v[56:57]
	v_fmac_f64_e32 v[64:65], s[0:1], v[18:19]
	v_fmac_f64_e32 v[66:67], s[2:3], v[34:35]
	;; [unrolled: 1-line block ×4, first 2 shown]
	v_add_f64 v[12:13], v[46:47], v[30:31]
	v_add_f64 v[16:17], v[50:51], v[38:39]
	v_add_f64 v[20:21], v[0:1], v[60:61]
	v_add_f64 v[14:15], v[52:53], v[64:65]
	v_add_f64 v[18:19], v[54:55], v[66:67]
	v_add_f64 v[22:23], v[2:3], v[68:69]
	v_add_f64 v[26:27], v[48:49], v[58:59]
	v_add_f64 v[4:5], v[40:41], -v[32:33]
	v_add_f64 v[28:29], v[46:47], -v[30:31]
	;; [unrolled: 1-line block ×10, first 2 shown]
	ds_write_b128 v194, v[8:11]
	ds_write_b128 v194, v[12:15] offset:1088
	ds_write_b128 v194, v[16:19] offset:2176
	;; [unrolled: 1-line block ×9, first 2 shown]
	s_and_b64 s[0:1], exec, vcc
	v_accvgpr_read_b32 v24, a4
	s_waitcnt lgkmcnt(0)
	s_barrier
	s_mov_b64 exec, s[0:1]
	s_cbranch_execz .LBB0_23
; %bb.22:
	v_accvgpr_read_b32 v22, a2
	global_load_dwordx4 v[2:5], v22, s[8:9]
	v_mad_u64_u32 v[14:15], s[0:1], s6, v24, 0
	v_accvgpr_read_b32 v26, a0
	v_mad_u64_u32 v[16:17], s[2:3], s4, v26, 0
	ds_read_b128 v[6:9], v194
	ds_read_b128 v[10:13], v194 offset:640
	v_mov_b32_e32 v18, v15
	v_mov_b32_e32 v20, v17
	v_mad_u64_u32 v[18:19], s[2:3], s7, v24, v[18:19]
	v_mov_b32_e32 v0, s12
	v_mov_b32_e32 v1, s13
	v_mad_u64_u32 v[20:21], s[2:3], s5, v26, v[20:21]
	v_mov_b32_e32 v15, v18
	v_mov_b32_e32 v17, v20
	v_lshl_add_u64 v[0:1], v[14:15], 4, v[0:1]
	s_mov_b32 s0, 0x18181818
	v_lshl_add_u64 v[14:15], v[16:17], 4, v[0:1]
	s_mov_b32 s1, 0x3f581818
	s_mul_i32 s2, s5, 0x280
	v_mov_b32_e32 v23, 0
	s_movk_i32 s3, 0x1000
	s_waitcnt vmcnt(0) lgkmcnt(1)
	v_mul_f64 v[16:17], v[8:9], v[4:5]
	v_mul_f64 v[4:5], v[6:7], v[4:5]
	v_fmac_f64_e32 v[16:17], v[6:7], v[2:3]
	v_fma_f64 v[4:5], v[2:3], v[8:9], -v[4:5]
	v_mul_f64 v[2:3], v[16:17], s[0:1]
	v_mul_f64 v[4:5], v[4:5], s[0:1]
	global_store_dwordx4 v[14:15], v[2:5], off
	global_load_dwordx4 v[6:9], v22, s[8:9] offset:640
	s_nop 0
	v_mov_b32_e32 v4, 0x280
	v_mad_u64_u32 v[2:3], s[6:7], s4, v4, v[14:15]
	v_add_u32_e32 v3, s2, v3
	v_or_b32_e32 v5, 0x140, v26
	s_waitcnt vmcnt(0) lgkmcnt(0)
	v_mul_f64 v[14:15], v[12:13], v[8:9]
	v_mul_f64 v[8:9], v[10:11], v[8:9]
	v_fmac_f64_e32 v[14:15], v[10:11], v[6:7]
	v_fma_f64 v[8:9], v[6:7], v[12:13], -v[8:9]
	v_mul_f64 v[6:7], v[14:15], s[0:1]
	v_mul_f64 v[8:9], v[8:9], s[0:1]
	global_store_dwordx4 v[2:3], v[6:9], off
	global_load_dwordx4 v[6:9], v22, s[8:9] offset:1280
	ds_read_b128 v[10:13], v194 offset:1280
	ds_read_b128 v[14:17], v194 offset:1920
	v_mad_u64_u32 v[2:3], s[6:7], s4, v4, v[2:3]
	v_add_u32_e32 v3, s2, v3
	s_waitcnt vmcnt(0) lgkmcnt(1)
	v_mul_f64 v[18:19], v[12:13], v[8:9]
	v_mul_f64 v[8:9], v[10:11], v[8:9]
	v_fmac_f64_e32 v[18:19], v[10:11], v[6:7]
	v_fma_f64 v[8:9], v[6:7], v[12:13], -v[8:9]
	v_mul_f64 v[6:7], v[18:19], s[0:1]
	v_mul_f64 v[8:9], v[8:9], s[0:1]
	global_store_dwordx4 v[2:3], v[6:9], off
	global_load_dwordx4 v[6:9], v22, s[8:9] offset:1920
	v_mad_u64_u32 v[2:3], s[6:7], s4, v4, v[2:3]
	v_add_u32_e32 v3, s2, v3
	s_waitcnt vmcnt(0) lgkmcnt(0)
	v_mul_f64 v[10:11], v[16:17], v[8:9]
	v_mul_f64 v[8:9], v[14:15], v[8:9]
	v_fmac_f64_e32 v[10:11], v[14:15], v[6:7]
	v_fma_f64 v[8:9], v[6:7], v[16:17], -v[8:9]
	v_mul_f64 v[6:7], v[10:11], s[0:1]
	v_mul_f64 v[8:9], v[8:9], s[0:1]
	global_store_dwordx4 v[2:3], v[6:9], off
	global_load_dwordx4 v[6:9], v22, s[8:9] offset:2560
	ds_read_b128 v[10:13], v194 offset:2560
	ds_read_b128 v[14:17], v194 offset:3200
	v_mad_u64_u32 v[2:3], s[6:7], s4, v4, v[2:3]
	v_add_u32_e32 v3, s2, v3
	s_waitcnt vmcnt(0) lgkmcnt(1)
	v_mul_f64 v[18:19], v[12:13], v[8:9]
	v_mul_f64 v[8:9], v[10:11], v[8:9]
	v_fmac_f64_e32 v[18:19], v[10:11], v[6:7]
	v_fma_f64 v[8:9], v[6:7], v[12:13], -v[8:9]
	v_mul_f64 v[6:7], v[18:19], s[0:1]
	v_mul_f64 v[8:9], v[8:9], s[0:1]
	global_store_dwordx4 v[2:3], v[6:9], off
	global_load_dwordx4 v[6:9], v22, s[8:9] offset:3200
	v_mad_u64_u32 v[18:19], s[6:7], s4, v4, v[2:3]
	v_add_u32_e32 v19, s2, v19
	s_waitcnt vmcnt(0) lgkmcnt(0)
	v_mul_f64 v[2:3], v[16:17], v[8:9]
	v_mul_f64 v[8:9], v[14:15], v[8:9]
	v_fmac_f64_e32 v[2:3], v[14:15], v[6:7]
	v_fma_f64 v[8:9], v[6:7], v[16:17], -v[8:9]
	v_mul_f64 v[6:7], v[2:3], s[0:1]
	v_mul_f64 v[8:9], v[8:9], s[0:1]
	global_store_dwordx4 v[18:19], v[6:9], off
	global_load_dwordx4 v[6:9], v22, s[8:9] offset:3840
	ds_read_b128 v[10:13], v194 offset:3840
	ds_read_b128 v[14:17], v194 offset:4480
	v_lshl_add_u64 v[2:3], s[8:9], 0, v[22:23]
	v_mad_u64_u32 v[18:19], s[6:7], s4, v4, v[18:19]
	v_add_co_u32_e32 v20, vcc, s3, v2
	v_add_u32_e32 v19, s2, v19
	s_nop 0
	v_addc_co_u32_e32 v21, vcc, 0, v3, vcc
	s_mul_i32 s3, s5, 0x500
	s_waitcnt vmcnt(0) lgkmcnt(1)
	v_mul_f64 v[22:23], v[12:13], v[8:9]
	v_mul_f64 v[8:9], v[10:11], v[8:9]
	v_fmac_f64_e32 v[22:23], v[10:11], v[6:7]
	v_fma_f64 v[8:9], v[6:7], v[12:13], -v[8:9]
	v_mul_f64 v[6:7], v[22:23], s[0:1]
	v_mul_f64 v[8:9], v[8:9], s[0:1]
	global_store_dwordx4 v[18:19], v[6:9], off
	global_load_dwordx4 v[6:9], v[20:21], off offset:384
	v_mad_u64_u32 v[18:19], s[6:7], s4, v4, v[18:19]
	v_add_u32_e32 v19, s2, v19
	v_lshlrev_b32_e32 v12, 4, v5
	v_mad_u64_u32 v[22:23], s[6:7], s4, v5, 0
	v_mov_b32_e32 v24, v23
	v_mad_u64_u32 v[24:25], s[6:7], s5, v5, v[24:25]
	v_mov_b32_e32 v23, v24
	v_lshl_add_u64 v[22:23], v[22:23], 4, v[0:1]
	v_mov_b32_e32 v5, 0x500
	s_waitcnt vmcnt(0) lgkmcnt(0)
	v_mul_f64 v[10:11], v[16:17], v[8:9]
	v_mul_f64 v[8:9], v[14:15], v[8:9]
	v_fmac_f64_e32 v[10:11], v[14:15], v[6:7]
	v_fma_f64 v[8:9], v[6:7], v[16:17], -v[8:9]
	v_mul_f64 v[6:7], v[10:11], s[0:1]
	v_mul_f64 v[8:9], v[8:9], s[0:1]
	global_store_dwordx4 v[18:19], v[6:9], off
	global_load_dwordx4 v[6:9], v12, s[8:9]
	ds_read_b128 v[10:13], v194 offset:5120
	ds_read_b128 v[14:17], v194 offset:5760
	v_mad_u64_u32 v[18:19], s[6:7], s4, v5, v[18:19]
	v_add_u32_e32 v19, s3, v19
	s_movk_i32 s3, 0x2000
	v_add_co_u32_e32 v2, vcc, s3, v2
	s_waitcnt vmcnt(0) lgkmcnt(1)
	v_mul_f64 v[24:25], v[12:13], v[8:9]
	v_mul_f64 v[8:9], v[10:11], v[8:9]
	v_fmac_f64_e32 v[24:25], v[10:11], v[6:7]
	v_fma_f64 v[8:9], v[6:7], v[12:13], -v[8:9]
	v_mul_f64 v[6:7], v[24:25], s[0:1]
	v_mul_f64 v[8:9], v[8:9], s[0:1]
	global_store_dwordx4 v[22:23], v[6:9], off
	global_load_dwordx4 v[6:9], v[20:21], off offset:1664
	v_addc_co_u32_e32 v3, vcc, 0, v3, vcc
	s_waitcnt vmcnt(0) lgkmcnt(0)
	v_mul_f64 v[10:11], v[16:17], v[8:9]
	v_mul_f64 v[8:9], v[14:15], v[8:9]
	v_fmac_f64_e32 v[10:11], v[14:15], v[6:7]
	v_fma_f64 v[8:9], v[6:7], v[16:17], -v[8:9]
	v_mul_f64 v[6:7], v[10:11], s[0:1]
	v_mul_f64 v[8:9], v[8:9], s[0:1]
	global_store_dwordx4 v[18:19], v[6:9], off
	global_load_dwordx4 v[6:9], v[20:21], off offset:2304
	ds_read_b128 v[10:13], v194 offset:6400
	ds_read_b128 v[14:17], v194 offset:7040
	v_mad_u64_u32 v[18:19], s[6:7], s4, v4, v[18:19]
	v_add_u32_e32 v19, s2, v19
	s_waitcnt vmcnt(0) lgkmcnt(1)
	v_mul_f64 v[22:23], v[12:13], v[8:9]
	v_mul_f64 v[8:9], v[10:11], v[8:9]
	v_fmac_f64_e32 v[22:23], v[10:11], v[6:7]
	v_fma_f64 v[8:9], v[6:7], v[12:13], -v[8:9]
	v_mul_f64 v[6:7], v[22:23], s[0:1]
	v_mul_f64 v[8:9], v[8:9], s[0:1]
	global_store_dwordx4 v[18:19], v[6:9], off
	global_load_dwordx4 v[6:9], v[20:21], off offset:2944
	v_mad_u64_u32 v[18:19], s[6:7], s4, v4, v[18:19]
	v_add_u32_e32 v19, s2, v19
	s_waitcnt vmcnt(0) lgkmcnt(0)
	v_mul_f64 v[10:11], v[16:17], v[8:9]
	v_mul_f64 v[8:9], v[14:15], v[8:9]
	v_fmac_f64_e32 v[10:11], v[14:15], v[6:7]
	v_fma_f64 v[8:9], v[6:7], v[16:17], -v[8:9]
	v_mul_f64 v[6:7], v[10:11], s[0:1]
	v_mul_f64 v[8:9], v[8:9], s[0:1]
	global_store_dwordx4 v[18:19], v[6:9], off
	global_load_dwordx4 v[6:9], v[20:21], off offset:3584
	ds_read_b128 v[10:13], v194 offset:7680
	ds_read_b128 v[14:17], v194 offset:8320
	v_mad_u64_u32 v[18:19], s[6:7], s4, v4, v[18:19]
	v_add_u32_e32 v19, s2, v19
	s_waitcnt vmcnt(0) lgkmcnt(1)
	v_mul_f64 v[20:21], v[12:13], v[8:9]
	v_mul_f64 v[8:9], v[10:11], v[8:9]
	v_fmac_f64_e32 v[20:21], v[10:11], v[6:7]
	v_fma_f64 v[8:9], v[6:7], v[12:13], -v[8:9]
	v_mul_f64 v[6:7], v[20:21], s[0:1]
	v_mul_f64 v[8:9], v[8:9], s[0:1]
	global_store_dwordx4 v[18:19], v[6:9], off
	global_load_dwordx4 v[6:9], v[2:3], off offset:128
	v_mad_u64_u32 v[18:19], s[6:7], s4, v4, v[18:19]
	v_add_u32_e32 v19, s2, v19
	s_waitcnt vmcnt(0) lgkmcnt(0)
	v_mul_f64 v[10:11], v[16:17], v[8:9]
	v_mul_f64 v[8:9], v[14:15], v[8:9]
	v_fmac_f64_e32 v[10:11], v[14:15], v[6:7]
	v_fma_f64 v[8:9], v[6:7], v[16:17], -v[8:9]
	v_mul_f64 v[6:7], v[10:11], s[0:1]
	v_mul_f64 v[8:9], v[8:9], s[0:1]
	global_store_dwordx4 v[18:19], v[6:9], off
	global_load_dwordx4 v[6:9], v[2:3], off offset:768
	ds_read_b128 v[10:13], v194 offset:8960
	ds_read_b128 v[14:17], v194 offset:9600
	v_mad_u64_u32 v[18:19], s[6:7], s4, v4, v[18:19]
	v_add_u32_e32 v19, s2, v19
	s_waitcnt vmcnt(0) lgkmcnt(1)
	v_mul_f64 v[20:21], v[12:13], v[8:9]
	v_mul_f64 v[8:9], v[10:11], v[8:9]
	v_fmac_f64_e32 v[20:21], v[10:11], v[6:7]
	v_fma_f64 v[8:9], v[6:7], v[12:13], -v[8:9]
	v_mul_f64 v[6:7], v[20:21], s[0:1]
	v_mul_f64 v[8:9], v[8:9], s[0:1]
	global_store_dwordx4 v[18:19], v[6:9], off
	global_load_dwordx4 v[6:9], v[2:3], off offset:1408
	v_mad_u64_u32 v[10:11], s[6:7], s4, v4, v[18:19]
	v_or_b32_e32 v13, 0x280, v26
	v_add_u32_e32 v11, s2, v11
	v_lshlrev_b32_e32 v12, 4, v13
	s_waitcnt vmcnt(0) lgkmcnt(0)
	v_mul_f64 v[2:3], v[16:17], v[8:9]
	v_mul_f64 v[4:5], v[14:15], v[8:9]
	v_fmac_f64_e32 v[2:3], v[14:15], v[6:7]
	v_fma_f64 v[4:5], v[6:7], v[16:17], -v[4:5]
	v_mul_f64 v[2:3], v[2:3], s[0:1]
	v_mul_f64 v[4:5], v[4:5], s[0:1]
	global_store_dwordx4 v[10:11], v[2:5], off
	global_load_dwordx4 v[2:5], v12, s[8:9]
	ds_read_b128 v[6:9], v194 offset:10240
	v_mad_u64_u32 v[10:11], s[2:3], s4, v13, 0
	v_mov_b32_e32 v12, v11
	v_mad_u64_u32 v[12:13], s[2:3], s5, v13, v[12:13]
	v_mov_b32_e32 v11, v12
	v_lshl_add_u64 v[0:1], v[10:11], 4, v[0:1]
	s_waitcnt vmcnt(0) lgkmcnt(0)
	v_mul_f64 v[12:13], v[8:9], v[4:5]
	v_mul_f64 v[4:5], v[6:7], v[4:5]
	v_fmac_f64_e32 v[12:13], v[6:7], v[2:3]
	v_fma_f64 v[4:5], v[2:3], v[8:9], -v[4:5]
	v_mul_f64 v[2:3], v[12:13], s[0:1]
	v_mul_f64 v[4:5], v[4:5], s[0:1]
	global_store_dwordx4 v[0:1], v[2:5], off
.LBB0_23:
	s_endpgm
	.section	.rodata,"a",@progbits
	.p2align	6, 0x0
	.amdhsa_kernel bluestein_single_fwd_len680_dim1_dp_op_CI_CI
		.amdhsa_group_segment_fixed_size 32640
		.amdhsa_private_segment_fixed_size 0
		.amdhsa_kernarg_size 104
		.amdhsa_user_sgpr_count 2
		.amdhsa_user_sgpr_dispatch_ptr 0
		.amdhsa_user_sgpr_queue_ptr 0
		.amdhsa_user_sgpr_kernarg_segment_ptr 1
		.amdhsa_user_sgpr_dispatch_id 0
		.amdhsa_user_sgpr_kernarg_preload_length 0
		.amdhsa_user_sgpr_kernarg_preload_offset 0
		.amdhsa_user_sgpr_private_segment_size 0
		.amdhsa_uses_dynamic_stack 0
		.amdhsa_enable_private_segment 0
		.amdhsa_system_sgpr_workgroup_id_x 1
		.amdhsa_system_sgpr_workgroup_id_y 0
		.amdhsa_system_sgpr_workgroup_id_z 0
		.amdhsa_system_sgpr_workgroup_info 0
		.amdhsa_system_vgpr_workitem_id 0
		.amdhsa_next_free_vgpr 388
		.amdhsa_next_free_sgpr 62
		.amdhsa_accum_offset 256
		.amdhsa_reserve_vcc 1
		.amdhsa_float_round_mode_32 0
		.amdhsa_float_round_mode_16_64 0
		.amdhsa_float_denorm_mode_32 3
		.amdhsa_float_denorm_mode_16_64 3
		.amdhsa_dx10_clamp 1
		.amdhsa_ieee_mode 1
		.amdhsa_fp16_overflow 0
		.amdhsa_tg_split 0
		.amdhsa_exception_fp_ieee_invalid_op 0
		.amdhsa_exception_fp_denorm_src 0
		.amdhsa_exception_fp_ieee_div_zero 0
		.amdhsa_exception_fp_ieee_overflow 0
		.amdhsa_exception_fp_ieee_underflow 0
		.amdhsa_exception_fp_ieee_inexact 0
		.amdhsa_exception_int_div_zero 0
	.end_amdhsa_kernel
	.text
.Lfunc_end0:
	.size	bluestein_single_fwd_len680_dim1_dp_op_CI_CI, .Lfunc_end0-bluestein_single_fwd_len680_dim1_dp_op_CI_CI
                                        ; -- End function
	.section	.AMDGPU.csdata,"",@progbits
; Kernel info:
; codeLenInByte = 26432
; NumSgprs: 68
; NumVgprs: 256
; NumAgprs: 132
; TotalNumVgprs: 388
; ScratchSize: 0
; MemoryBound: 0
; FloatMode: 240
; IeeeMode: 1
; LDSByteSize: 32640 bytes/workgroup (compile time only)
; SGPRBlocks: 8
; VGPRBlocks: 48
; NumSGPRsForWavesPerEU: 68
; NumVGPRsForWavesPerEU: 388
; AccumOffset: 256
; Occupancy: 1
; WaveLimiterHint : 1
; COMPUTE_PGM_RSRC2:SCRATCH_EN: 0
; COMPUTE_PGM_RSRC2:USER_SGPR: 2
; COMPUTE_PGM_RSRC2:TRAP_HANDLER: 0
; COMPUTE_PGM_RSRC2:TGID_X_EN: 1
; COMPUTE_PGM_RSRC2:TGID_Y_EN: 0
; COMPUTE_PGM_RSRC2:TGID_Z_EN: 0
; COMPUTE_PGM_RSRC2:TIDIG_COMP_CNT: 0
; COMPUTE_PGM_RSRC3_GFX90A:ACCUM_OFFSET: 63
; COMPUTE_PGM_RSRC3_GFX90A:TG_SPLIT: 0
	.text
	.p2alignl 6, 3212836864
	.fill 256, 4, 3212836864
	.type	__hip_cuid_4f9f08d9ec464de1,@object ; @__hip_cuid_4f9f08d9ec464de1
	.section	.bss,"aw",@nobits
	.globl	__hip_cuid_4f9f08d9ec464de1
__hip_cuid_4f9f08d9ec464de1:
	.byte	0                               ; 0x0
	.size	__hip_cuid_4f9f08d9ec464de1, 1

	.ident	"AMD clang version 19.0.0git (https://github.com/RadeonOpenCompute/llvm-project roc-6.4.0 25133 c7fe45cf4b819c5991fe208aaa96edf142730f1d)"
	.section	".note.GNU-stack","",@progbits
	.addrsig
	.addrsig_sym __hip_cuid_4f9f08d9ec464de1
	.amdgpu_metadata
---
amdhsa.kernels:
  - .agpr_count:     132
    .args:
      - .actual_access:  read_only
        .address_space:  global
        .offset:         0
        .size:           8
        .value_kind:     global_buffer
      - .actual_access:  read_only
        .address_space:  global
        .offset:         8
        .size:           8
        .value_kind:     global_buffer
      - .actual_access:  read_only
        .address_space:  global
        .offset:         16
        .size:           8
        .value_kind:     global_buffer
      - .actual_access:  read_only
        .address_space:  global
        .offset:         24
        .size:           8
        .value_kind:     global_buffer
      - .actual_access:  read_only
        .address_space:  global
        .offset:         32
        .size:           8
        .value_kind:     global_buffer
      - .offset:         40
        .size:           8
        .value_kind:     by_value
      - .address_space:  global
        .offset:         48
        .size:           8
        .value_kind:     global_buffer
      - .address_space:  global
        .offset:         56
        .size:           8
        .value_kind:     global_buffer
      - .address_space:  global
        .offset:         64
        .size:           8
        .value_kind:     global_buffer
      - .address_space:  global
        .offset:         72
        .size:           8
        .value_kind:     global_buffer
      - .offset:         80
        .size:           4
        .value_kind:     by_value
      - .address_space:  global
        .offset:         88
        .size:           8
        .value_kind:     global_buffer
      - .address_space:  global
        .offset:         96
        .size:           8
        .value_kind:     global_buffer
    .group_segment_fixed_size: 32640
    .kernarg_segment_align: 8
    .kernarg_segment_size: 104
    .language:       OpenCL C
    .language_version:
      - 2
      - 0
    .max_flat_workgroup_size: 204
    .name:           bluestein_single_fwd_len680_dim1_dp_op_CI_CI
    .private_segment_fixed_size: 0
    .sgpr_count:     68
    .sgpr_spill_count: 0
    .symbol:         bluestein_single_fwd_len680_dim1_dp_op_CI_CI.kd
    .uniform_work_group_size: 1
    .uses_dynamic_stack: false
    .vgpr_count:     388
    .vgpr_spill_count: 0
    .wavefront_size: 64
amdhsa.target:   amdgcn-amd-amdhsa--gfx950
amdhsa.version:
  - 1
  - 2
...

	.end_amdgpu_metadata
